;; amdgpu-corpus repo=ROCm/rocFFT kind=compiled arch=gfx950 opt=O3
	.text
	.amdgcn_target "amdgcn-amd-amdhsa--gfx950"
	.amdhsa_code_object_version 6
	.protected	bluestein_single_back_len273_dim1_sp_op_CI_CI ; -- Begin function bluestein_single_back_len273_dim1_sp_op_CI_CI
	.globl	bluestein_single_back_len273_dim1_sp_op_CI_CI
	.p2align	8
	.type	bluestein_single_back_len273_dim1_sp_op_CI_CI,@function
bluestein_single_back_len273_dim1_sp_op_CI_CI: ; @bluestein_single_back_len273_dim1_sp_op_CI_CI
; %bb.0:
	s_load_dwordx4 s[12:15], s[0:1], 0x28
	v_mul_u32_u24_e32 v1, 0x13b2, v0
	v_lshrrev_b32_e32 v4, 16, v1
	v_mov_b32_e32 v65, 0
	v_lshl_add_u32 v8, s2, 2, v4
	v_mov_b32_e32 v9, v65
	s_waitcnt lgkmcnt(0)
	v_cmp_gt_u64_e32 vcc, s[12:13], v[8:9]
	s_and_saveexec_b64 s[2:3], vcc
	s_cbranch_execz .LBB0_15
; %bb.1:
	s_load_dwordx4 s[4:7], s[0:1], 0x18
	s_load_dwordx2 s[12:13], s[0:1], 0x0
	v_mul_lo_u16_e32 v1, 13, v4
	v_sub_u16_e32 v64, v0, v1
	v_accvgpr_write_b32 a20, v8
	s_waitcnt lgkmcnt(0)
	s_load_dwordx4 s[8:11], s[4:5], 0x0
	v_mov_b32_e32 v2, s14
	v_mov_b32_e32 v3, s15
	v_lshlrev_b32_e32 v102, 3, v64
	global_load_dwordx2 v[56:57], v102, s[12:13]
	s_waitcnt lgkmcnt(0)
	v_mad_u64_u32 v[0:1], s[2:3], s10, v8, 0
	v_mov_b32_e32 v6, v1
	v_mad_u64_u32 v[6:7], s[2:3], s11, v8, v[6:7]
	v_mov_b32_e32 v1, v6
	;; [unrolled: 2-line block ×3, first 2 shown]
	v_mad_u64_u32 v[8:9], s[2:3], s9, v64, v[8:9]
	s_mul_i32 s2, s9, 21
	s_mul_hi_u32 s3, s8, 21
	v_mov_b32_e32 v7, v8
	v_lshl_add_u64 v[0:1], v[0:1], 3, v[2:3]
	s_add_i32 s3, s3, s2
	s_mul_i32 s2, s8, 21
	v_lshl_add_u64 v[2:3], v[6:7], 3, v[0:1]
	s_lshl_b64 s[10:11], s[2:3], 3
	global_load_dwordx2 v[6:7], v[2:3], off
	v_lshl_add_u64 v[2:3], v[2:3], 0, s[10:11]
	global_load_dwordx2 v[8:9], v[2:3], off
	global_load_dwordx2 v[54:55], v102, s[12:13] offset:168
	v_lshl_add_u64 v[2:3], v[2:3], 0, s[10:11]
	global_load_dwordx2 v[52:53], v102, s[12:13] offset:336
	global_load_dwordx2 v[10:11], v[2:3], off
	v_lshl_add_u64 v[2:3], v[2:3], 0, s[10:11]
	global_load_dwordx2 v[12:13], v[2:3], off
	global_load_dwordx2 v[50:51], v102, s[12:13] offset:504
	v_lshl_add_u64 v[2:3], v[2:3], 0, s[10:11]
	global_load_dwordx2 v[14:15], v[2:3], off
	global_load_dwordx2 v[48:49], v102, s[12:13] offset:672
	;; [unrolled: 3-line block ×4, first 2 shown]
	v_lshl_add_u64 v[2:3], v[2:3], 0, s[10:11]
	global_load_dwordx2 v[42:43], v102, s[12:13] offset:1176
	global_load_dwordx2 v[20:21], v[2:3], off
	v_lshl_add_u64 v[2:3], v[2:3], 0, s[10:11]
	global_load_dwordx2 v[22:23], v[2:3], off
	global_load_dwordx2 v[40:41], v102, s[12:13] offset:1344
	v_lshl_add_u64 v[2:3], v[2:3], 0, s[10:11]
	global_load_dwordx2 v[24:25], v[2:3], off
	global_load_dwordx2 v[38:39], v102, s[12:13] offset:1512
	;; [unrolled: 3-line block ×3, first 2 shown]
	global_load_dwordx2 v[34:35], v102, s[12:13] offset:1848
	v_lshl_add_u64 v[2:3], v[2:3], 0, s[10:11]
	global_load_dwordx2 v[28:29], v[2:3], off
	global_load_dwordx2 v[32:33], v102, s[12:13] offset:2016
	v_lshl_add_u64 v[2:3], v[2:3], 0, s[10:11]
	global_load_dwordx2 v[30:31], v[2:3], off
	v_and_b32_e32 v4, 3, v4
	v_mul_u32_u24_e32 v4, 0x111, v4
	v_accvgpr_write_b32 a21, v4
	v_lshlrev_b32_e32 v66, 3, v4
	v_add_u32_e32 v127, v66, v102
	s_load_dwordx2 s[2:3], s[0:1], 0x38
	v_mov_b32_e32 v103, v65
	s_load_dwordx4 s[4:7], s[6:7], 0x0
	v_lshl_add_u64 v[106:107], s[12:13], 0, v[102:103]
	v_cmp_gt_u16_e32 vcc, 8, v64
	s_waitcnt vmcnt(25)
	v_accvgpr_write_b32 a28, v56
	v_accvgpr_write_b32 a29, v57
	s_waitcnt vmcnt(24)
	v_mul_f32_e32 v4, v7, v57
	v_mul_f32_e32 v5, v6, v57
	v_fmac_f32_e32 v4, v6, v56
	v_fma_f32 v5, v7, v56, -v5
	s_waitcnt vmcnt(22)
	v_mul_f32_e32 v6, v9, v55
	v_mul_f32_e32 v7, v8, v55
	v_fmac_f32_e32 v6, v8, v54
	v_fma_f32 v7, v9, v54, -v7
	s_waitcnt vmcnt(20)
	v_mul_f32_e32 v8, v11, v53
	v_mul_f32_e32 v9, v10, v53
	ds_write2_b64 v127, v[4:5], v[6:7] offset1:21
	s_waitcnt vmcnt(18)
	v_mul_f32_e32 v4, v13, v51
	v_mul_f32_e32 v5, v12, v51
	v_fmac_f32_e32 v8, v10, v52
	v_fma_f32 v9, v11, v52, -v9
	v_fmac_f32_e32 v4, v12, v50
	v_fma_f32 v5, v13, v50, -v5
	s_waitcnt vmcnt(16)
	v_mul_f32_e32 v6, v15, v49
	v_mul_f32_e32 v7, v14, v49
	ds_write2_b64 v127, v[8:9], v[4:5] offset0:42 offset1:63
	s_waitcnt vmcnt(14)
	v_mul_f32_e32 v4, v17, v47
	v_mul_f32_e32 v5, v16, v47
	v_fmac_f32_e32 v6, v14, v48
	v_fma_f32 v7, v15, v48, -v7
	v_fmac_f32_e32 v4, v16, v46
	v_fma_f32 v5, v17, v46, -v5
	s_waitcnt vmcnt(12)
	v_mul_f32_e32 v8, v19, v45
	v_mul_f32_e32 v9, v18, v45
	ds_write2_b64 v127, v[6:7], v[4:5] offset0:84 offset1:105
	s_waitcnt vmcnt(10)
	v_mul_f32_e32 v4, v21, v43
	v_mul_f32_e32 v5, v20, v43
	v_fmac_f32_e32 v8, v18, v44
	v_fma_f32 v9, v19, v44, -v9
	v_fmac_f32_e32 v4, v20, v42
	v_fma_f32 v5, v21, v42, -v5
	ds_write2_b64 v127, v[8:9], v[4:5] offset0:126 offset1:147
	s_waitcnt vmcnt(8)
	v_mul_f32_e32 v4, v23, v41
	v_mul_f32_e32 v5, v22, v41
	s_waitcnt vmcnt(6)
	v_mul_f32_e32 v6, v25, v39
	v_mul_f32_e32 v7, v24, v39
	v_fmac_f32_e32 v4, v22, v40
	v_fma_f32 v5, v23, v40, -v5
	v_fmac_f32_e32 v6, v24, v38
	v_fma_f32 v7, v25, v38, -v7
	ds_write2_b64 v127, v[4:5], v[6:7] offset0:168 offset1:189
	s_waitcnt vmcnt(4)
	v_mul_f32_e32 v4, v27, v37
	v_mul_f32_e32 v5, v26, v37
	s_waitcnt vmcnt(2)
	v_mul_f32_e32 v6, v29, v35
	v_mul_f32_e32 v7, v28, v35
	v_fmac_f32_e32 v4, v26, v36
	v_fma_f32 v5, v27, v36, -v5
	v_fmac_f32_e32 v6, v28, v34
	v_fma_f32 v7, v29, v34, -v7
	v_accvgpr_write_b32 a26, v54
	v_accvgpr_write_b32 a24, v52
	;; [unrolled: 1-line block ×11, first 2 shown]
	ds_write2_b64 v127, v[4:5], v[6:7] offset0:210 offset1:231
	s_waitcnt vmcnt(0)
	v_mul_f32_e32 v4, v31, v33
	v_mul_f32_e32 v5, v30, v33
	v_accvgpr_write_b32 a2, v32
	v_accvgpr_write_b32 a27, v55
	;; [unrolled: 1-line block ×12, first 2 shown]
	v_fmac_f32_e32 v4, v30, v32
	v_accvgpr_write_b32 a3, v33
	v_fma_f32 v5, v31, v32, -v5
	ds_write_b64 v127, v[4:5] offset:2016
	s_and_saveexec_b64 s[14:15], vcc
	s_cbranch_execz .LBB0_3
; %bb.2:
	v_mov_b32_e32 v4, 0xfffff888
	v_mad_u64_u32 v[2:3], s[16:17], s8, v4, v[2:3]
	s_mul_i32 s16, s9, 0xfffff888
	s_sub_i32 s16, s16, s8
	v_or_b32_e32 v23, 0xa0, v64
	v_add_u32_e32 v3, s16, v3
	v_mad_u64_u32 v[20:21], s[16:17], s8, v23, 0
	v_mov_b32_e32 v22, v21
	global_load_dwordx2 v[4:5], v[2:3], off
	v_lshl_add_u64 v[2:3], v[2:3], 0, s[10:11]
	v_mad_u64_u32 v[22:23], s[16:17], s9, v23, v[22:23]
	global_load_dwordx2 v[6:7], v[2:3], off
	v_lshl_add_u64 v[2:3], v[2:3], 0, s[10:11]
	v_mov_b32_e32 v21, v22
	global_load_dwordx2 v[8:9], v[2:3], off
	global_load_dwordx2 v[10:11], v[106:107], off offset:104
	v_lshl_add_u64 v[2:3], v[2:3], 0, s[10:11]
	v_lshl_add_u64 v[0:1], v[20:21], 3, v[0:1]
	global_load_dwordx2 v[12:13], v[2:3], off
	global_load_dwordx2 v[14:15], v[106:107], off offset:272
	global_load_dwordx2 v[16:17], v[106:107], off offset:440
	;; [unrolled: 1-line block ×3, first 2 shown]
	global_load_dwordx2 v[20:21], v[0:1], off
	global_load_dwordx2 v[22:23], v[106:107], off offset:1280
	v_lshl_add_u64 v[0:1], v[2:3], 0, s[10:11]
	global_load_dwordx2 v[2:3], v[0:1], off
	global_load_dwordx2 v[24:25], v[106:107], off offset:776
	v_lshl_add_u64 v[0:1], v[0:1], 0, s[10:11]
	global_load_dwordx2 v[26:27], v[0:1], off
	global_load_dwordx2 v[28:29], v[106:107], off offset:944
	global_load_dwordx2 v[30:31], v[106:107], off offset:1112
	v_lshl_add_u64 v[0:1], v[0:1], 0, s[10:11]
	v_mov_b32_e32 v34, 0x150
	global_load_dwordx2 v[32:33], v[0:1], off
	v_mad_u64_u32 v[0:1], s[16:17], s8, v34, v[0:1]
	s_mul_i32 s8, s9, 0x150
	v_add_u32_e32 v1, s8, v1
	global_load_dwordx2 v[34:35], v[0:1], off
	global_load_dwordx2 v[36:37], v[106:107], off offset:1448
	v_lshl_add_u64 v[0:1], v[0:1], 0, s[10:11]
	global_load_dwordx2 v[38:39], v[0:1], off
	global_load_dwordx2 v[40:41], v[106:107], off offset:1616
	v_lshl_add_u64 v[0:1], v[0:1], 0, s[10:11]
	global_load_dwordx2 v[42:43], v[0:1], off
	global_load_dwordx2 v[44:45], v[106:107], off offset:1784
	global_load_dwordx2 v[46:47], v[106:107], off offset:1952
	v_lshl_add_u64 v[0:1], v[0:1], 0, s[10:11]
	global_load_dwordx2 v[48:49], v[0:1], off
	global_load_dwordx2 v[50:51], v[106:107], off offset:2120
	v_lshl_add_u64 v[0:1], v[0:1], 0, s[10:11]
	global_load_dwordx2 v[0:1], v[0:1], off
	s_waitcnt vmcnt(22)
	v_mul_f32_e32 v52, v5, v11
	v_mul_f32_e32 v11, v4, v11
	v_fmac_f32_e32 v52, v4, v10
	v_fma_f32 v53, v5, v10, -v11
	s_waitcnt vmcnt(20)
	v_mul_f32_e32 v4, v7, v15
	v_mul_f32_e32 v5, v6, v15
	v_fmac_f32_e32 v4, v6, v14
	v_fma_f32 v5, v7, v14, -v5
	s_waitcnt vmcnt(19)
	v_mul_f32_e32 v6, v9, v17
	v_mul_f32_e32 v7, v8, v17
	ds_write2_b64 v127, v[52:53], v[4:5] offset0:13 offset1:34
	s_waitcnt vmcnt(18)
	v_mul_f32_e32 v4, v13, v19
	v_mul_f32_e32 v5, v12, v19
	v_fmac_f32_e32 v6, v8, v16
	v_fma_f32 v7, v9, v16, -v7
	v_fmac_f32_e32 v4, v12, v18
	v_fma_f32 v5, v13, v18, -v5
	s_waitcnt vmcnt(14)
	v_mul_f32_e32 v10, v3, v25
	v_mul_f32_e32 v11, v2, v25
	;; [unrolled: 1-line block ×4, first 2 shown]
	ds_write2_b64 v127, v[6:7], v[4:5] offset0:55 offset1:76
	v_fmac_f32_e32 v10, v2, v24
	v_fma_f32 v11, v3, v24, -v11
	s_waitcnt vmcnt(12)
	v_mul_f32_e32 v2, v27, v29
	v_mul_f32_e32 v3, v26, v29
	s_waitcnt vmcnt(10)
	v_mul_f32_e32 v4, v33, v31
	v_mul_f32_e32 v5, v32, v31
	v_fmac_f32_e32 v8, v20, v22
	v_fma_f32 v9, v21, v22, -v9
	v_fmac_f32_e32 v2, v26, v28
	v_fma_f32 v3, v27, v28, -v3
	v_fmac_f32_e32 v4, v32, v30
	v_fma_f32 v5, v33, v30, -v5
	ds_write2_b64 v127, v[10:11], v[2:3] offset0:97 offset1:118
	ds_write2_b64 v127, v[4:5], v[8:9] offset0:139 offset1:160
	s_waitcnt vmcnt(8)
	v_mul_f32_e32 v2, v35, v37
	v_mul_f32_e32 v3, v34, v37
	s_waitcnt vmcnt(6)
	v_mul_f32_e32 v4, v39, v41
	v_mul_f32_e32 v5, v38, v41
	v_fmac_f32_e32 v2, v34, v36
	v_fma_f32 v3, v35, v36, -v3
	v_fmac_f32_e32 v4, v38, v40
	v_fma_f32 v5, v39, v40, -v5
	ds_write2_b64 v127, v[2:3], v[4:5] offset0:181 offset1:202
	s_waitcnt vmcnt(4)
	v_mul_f32_e32 v2, v43, v45
	v_mul_f32_e32 v3, v42, v45
	s_waitcnt vmcnt(2)
	v_mul_f32_e32 v4, v49, v47
	v_mul_f32_e32 v5, v48, v47
	v_fmac_f32_e32 v2, v42, v44
	v_fma_f32 v3, v43, v44, -v3
	v_fmac_f32_e32 v4, v48, v46
	v_fma_f32 v5, v49, v46, -v5
	ds_write2_b64 v127, v[2:3], v[4:5] offset0:223 offset1:244
	s_waitcnt vmcnt(0)
	v_mul_f32_e32 v2, v1, v51
	v_fmac_f32_e32 v2, v0, v50
	v_mul_f32_e32 v0, v0, v51
	v_fma_f32 v3, v1, v50, -v0
	ds_write_b64 v127, v[2:3] offset:2120
.LBB0_3:
	s_or_b64 exec, exec, s[14:15]
	s_waitcnt lgkmcnt(0)
	; wave barrier
	s_waitcnt lgkmcnt(0)
	ds_read2_b64 v[0:3], v127 offset1:21
	ds_read2_b64 v[44:47], v127 offset0:42 offset1:63
	ds_read2_b64 v[40:43], v127 offset0:84 offset1:105
	;; [unrolled: 1-line block ×5, first 2 shown]
	ds_read_b64 v[252:253], v127 offset:2016
	s_load_dwordx2 s[0:1], s[0:1], 0x8
	v_mov_b64_e32 v[4:5], 0
                                        ; implicit-def: $vgpr10
                                        ; implicit-def: $vgpr16
                                        ; implicit-def: $vgpr14
                                        ; implicit-def: $vgpr24
                                        ; implicit-def: $vgpr22
                                        ; implicit-def: $vgpr48
	s_and_saveexec_b64 s[8:9], vcc
	s_cbranch_execz .LBB0_5
; %bb.4:
	ds_read2_b64 v[4:7], v127 offset0:13 offset1:34
	ds_read2_b64 v[20:23], v127 offset0:55 offset1:76
	;; [unrolled: 1-line block ×6, first 2 shown]
	ds_read_b64 v[48:49], v127 offset:2120
.LBB0_5:
	s_or_b64 exec, exec, s[8:9]
	v_lshl_add_u64 v[50:51], v[64:65], 0, 13
	s_waitcnt lgkmcnt(0)
	v_accvgpr_write_b32 a46, v48
	v_pk_add_f32 v[110:111], v[20:21], v[26:27] neg_lo:[0,1] neg_hi:[0,1]
	s_mov_b32 s18, 0x3f7e222b
	v_accvgpr_write_b32 a58, v50
	v_pk_add_f32 v[50:51], v[48:49], v[6:7]
	v_accvgpr_write_b32 a47, v49
	v_pk_add_f32 v[48:49], v[6:7], v[48:49] neg_lo:[0,1] neg_hi:[0,1]
	s_mov_b32 s8, 0x3df6dbef
	v_pk_add_f32 v[54:55], v[26:27], v[20:21]
	v_pk_add_f32 v[98:99], v[22:23], v[24:25] neg_lo:[0,1] neg_hi:[0,1]
	v_pk_mul_f32 v[56:57], v[110:111], s[18:19] op_sel:[1,0] op_sel_hi:[0,0]
	s_mov_b32 s36, 0xbf52af12
	s_mov_b32 s40, 0xbeedf032
	;; [unrolled: 1-line block ×3, first 2 shown]
	v_pk_add_f32 v[60:61], v[24:25], v[22:23]
	v_pk_fma_f32 v[112:113], v[54:55], s[8:9], v[56:57] op_sel_hi:[1,0,1]
	v_pk_fma_f32 v[72:73], v[54:55], s[8:9], v[56:57] op_sel_hi:[1,0,1] neg_lo:[0,0,1] neg_hi:[0,0,1]
	s_mov_b32 s20, 0x3f116cb1
	v_pk_mul_f32 v[56:57], v[98:99], s[36:37] op_sel:[1,0] op_sel_hi:[0,0]
	v_accvgpr_write_b32 a43, v11
	s_mov_b32 s24, 0x3f62ad3f
	v_pk_mul_f32 v[76:77], v[48:49], s[40:41] op_sel_hi:[1,0]
	v_pk_add_f32 v[238:239], v[0:1], v[2:3]
	v_pk_add_f32 v[248:249], v[252:253], v[2:3]
	v_pk_add_f32 v[90:91], v[2:3], v[252:253] neg_lo:[0,1] neg_hi:[0,1]
	v_pk_mul_f32 v[2:3], v[48:49], s[30:31] op_sel_hi:[1,0]
	s_mov_b32 s14, 0xbf6f5d39
	v_pk_fma_f32 v[114:115], v[60:61], s[20:21], v[56:57] op_sel_hi:[1,0,1]
	v_pk_fma_f32 v[74:75], v[60:61], s[20:21], v[56:57] op_sel_hi:[1,0,1] neg_lo:[0,0,1] neg_hi:[0,0,1]
	v_pk_add_f32 v[56:57], v[10:11], v[8:9]
	v_accvgpr_write_b32 a42, v10
	v_accvgpr_write_b32 a41, v9
	;; [unrolled: 1-line block ×3, first 2 shown]
	v_pk_add_f32 v[146:147], v[8:9], v[10:11] neg_lo:[0,1] neg_hi:[0,1]
	v_pk_fma_f32 v[8:9], v[50:51], s[24:25], v[76:77] op_sel:[0,0,1] op_sel_hi:[1,0,0]
	v_pk_fma_f32 v[92:93], v[50:51], s[24:25], v[76:77] op_sel:[0,0,1] op_sel_hi:[1,0,0] neg_lo:[0,0,1] neg_hi:[0,0,1]
	v_pk_fma_f32 v[88:89], v[50:51], s[8:9], v[2:3] op_sel:[0,0,1] op_sel_hi:[1,0,0]
	v_pk_fma_f32 v[70:71], v[50:51], s[8:9], v[2:3] op_sel:[0,0,1] op_sel_hi:[1,0,0] neg_lo:[0,0,1] neg_hi:[0,0,1]
	s_mov_b32 s10, 0xbeb58ec6
	v_pk_mul_f32 v[2:3], v[48:49], s[14:15] op_sel_hi:[1,0]
	s_mov_b32 s38, 0x3f29c268
	v_mov_b32_e32 v76, v8
	v_mov_b32_e32 v77, v93
	v_pk_fma_f32 v[104:105], v[50:51], s[10:11], v[2:3] op_sel:[0,0,1] op_sel_hi:[1,0,0]
	v_pk_fma_f32 v[52:53], v[50:51], s[10:11], v[2:3] op_sel:[0,0,1] op_sel_hi:[1,0,0] neg_lo:[0,0,1] neg_hi:[0,0,1]
	s_mov_b32 s16, 0xbf3f9e67
	v_pk_mul_f32 v[2:3], v[110:111], s[38:39] op_sel:[1,0] op_sel_hi:[0,0]
	s_mov_b32 s22, 0xbf29c268
	v_pk_add_f32 v[94:95], v[76:77], v[4:5]
	v_pk_mul_f32 v[76:77], v[48:49], s[36:37] op_sel_hi:[1,0]
	v_pk_fma_f32 v[108:109], v[54:55], s[16:17], v[2:3] op_sel_hi:[1,0,1]
	v_pk_fma_f32 v[68:69], v[54:55], s[16:17], v[2:3] op_sel_hi:[1,0,1] neg_lo:[0,0,1] neg_hi:[0,0,1]
	v_pk_mul_f32 v[2:3], v[48:49], s[22:23] op_sel_hi:[1,0]
	v_accvgpr_write_b32 a53, v9
	v_pk_fma_f32 v[8:9], v[50:51], s[20:21], v[76:77] op_sel:[0,0,1] op_sel_hi:[1,0,0]
	v_pk_fma_f32 v[86:87], v[50:51], s[20:21], v[76:77] op_sel:[0,0,1] op_sel_hi:[1,0,0] neg_lo:[0,0,1] neg_hi:[0,0,1]
	v_accvgpr_write_b32 a51, v9
	v_mov_b32_e32 v76, v8
	v_pk_fma_f32 v[8:9], v[50:51], s[16:17], v[2:3] op_sel:[0,0,1] op_sel_hi:[1,0,0] neg_lo:[0,0,1] neg_hi:[0,0,1]
	v_pk_mul_f32 v[140:141], v[110:111], s[36:37] op_sel:[1,0] op_sel_hi:[0,0]
	v_pk_fma_f32 v[10:11], v[50:51], s[16:17], v[2:3] op_sel:[0,0,1] op_sel_hi:[1,0,0]
	v_accvgpr_write_b32 a60, v8
	v_mov_b32_e32 v3, v9
	v_pk_fma_f32 v[8:9], v[54:55], s[20:21], v[140:141] op_sel_hi:[1,0,1]
	v_pk_fma_f32 v[158:159], v[54:55], s[20:21], v[140:141] op_sel_hi:[1,0,1] neg_lo:[0,0,1] neg_hi:[0,0,1]
	v_mov_b32_e32 v140, v8
	v_mov_b32_e32 v141, v159
	v_pk_add_f32 v[94:95], v[140:141], v[94:95]
	v_pk_mul_f32 v[140:141], v[110:111], s[14:15] op_sel:[1,0] op_sel_hi:[0,0]
	v_mov_b32_e32 v77, v87
	v_accvgpr_write_b32 a59, v9
	v_pk_fma_f32 v[8:9], v[54:55], s[10:11], v[140:141] op_sel_hi:[1,0,1]
	v_pk_fma_f32 v[154:155], v[54:55], s[10:11], v[140:141] op_sel_hi:[1,0,1] neg_lo:[0,0,1] neg_hi:[0,0,1]
	v_pk_add_f32 v[96:97], v[76:77], v[4:5]
	v_mov_b32_e32 v140, v8
	v_mov_b32_e32 v141, v155
	s_mov_b32 s28, 0xbe750f2a
	v_pk_add_f32 v[96:97], v[140:141], v[96:97]
	s_mov_b32 s26, 0xbf788fa5
	v_pk_mul_f32 v[140:141], v[110:111], s[28:29] op_sel:[1,0] op_sel_hi:[0,0]
	v_mov_b32_e32 v76, v88
	v_mov_b32_e32 v77, v71
	v_accvgpr_write_b32 a57, v9
	v_pk_fma_f32 v[8:9], v[54:55], s[26:27], v[140:141] op_sel_hi:[1,0,1]
	v_pk_fma_f32 v[150:151], v[54:55], s[26:27], v[140:141] op_sel_hi:[1,0,1] neg_lo:[0,0,1] neg_hi:[0,0,1]
	v_pk_add_f32 v[136:137], v[76:77], v[4:5]
	v_mov_b32_e32 v76, v104
	v_mov_b32_e32 v77, v53
	;; [unrolled: 1-line block ×4, first 2 shown]
	v_pk_add_f32 v[138:139], v[76:77], v[4:5]
	v_mov_b32_e32 v2, v10
	v_pk_add_f32 v[136:137], v[140:141], v[136:137]
	v_mov_b32_e32 v140, v108
	v_mov_b32_e32 v141, v69
	v_pk_add_f32 v[2:3], v[2:3], v[4:5]
	v_pk_add_f32 v[138:139], v[140:141], v[138:139]
	v_mov_b32_e32 v140, v112
	v_mov_b32_e32 v141, v73
	v_pk_add_f32 v[2:3], v[140:141], v[2:3]
	v_pk_mul_f32 v[140:141], v[98:99], s[30:31] op_sel:[1,0] op_sel_hi:[0,0]
	v_accvgpr_write_b32 a55, v9
	v_pk_fma_f32 v[8:9], v[60:61], s[8:9], v[140:141] op_sel_hi:[1,0,1]
	v_pk_fma_f32 v[176:177], v[60:61], s[8:9], v[140:141] op_sel_hi:[1,0,1] neg_lo:[0,0,1] neg_hi:[0,0,1]
	v_mov_b32_e32 v140, v8
	v_mov_b32_e32 v141, v177
	v_pk_add_f32 v[94:95], v[140:141], v[94:95]
	v_pk_mul_f32 v[140:141], v[98:99], s[28:29] op_sel:[1,0] op_sel_hi:[0,0]
	v_accvgpr_write_b32 a71, v9
	v_pk_fma_f32 v[8:9], v[60:61], s[26:27], v[140:141] op_sel_hi:[1,0,1]
	v_pk_fma_f32 v[172:173], v[60:61], s[26:27], v[140:141] op_sel_hi:[1,0,1] neg_lo:[0,0,1] neg_hi:[0,0,1]
	v_mov_b32_e32 v140, v8
	v_mov_b32_e32 v141, v173
	s_mov_b32 s44, 0x3f6f5d39
	v_pk_add_f32 v[96:97], v[140:141], v[96:97]
	v_pk_mul_f32 v[140:141], v[98:99], s[44:45] op_sel:[1,0] op_sel_hi:[0,0]
	v_accvgpr_write_b32 a69, v9
	v_pk_fma_f32 v[8:9], v[60:61], s[10:11], v[140:141] op_sel_hi:[1,0,1]
	v_pk_fma_f32 v[168:169], v[60:61], s[10:11], v[140:141] op_sel_hi:[1,0,1] neg_lo:[0,0,1] neg_hi:[0,0,1]
	v_mov_b32_e32 v140, v8
	v_mov_b32_e32 v141, v169
	s_mov_b32 s34, 0x3eedf032
	v_pk_add_f32 v[136:137], v[140:141], v[136:137]
	v_pk_mul_f32 v[140:141], v[98:99], s[34:35] op_sel:[1,0] op_sel_hi:[0,0]
	v_accvgpr_write_b32 a67, v9
	v_pk_fma_f32 v[8:9], v[60:61], s[24:25], v[140:141] op_sel_hi:[1,0,1]
	v_pk_fma_f32 v[164:165], v[60:61], s[24:25], v[140:141] op_sel_hi:[1,0,1] neg_lo:[0,0,1] neg_hi:[0,0,1]
	v_mov_b32_e32 v140, v8
	v_mov_b32_e32 v141, v165
	v_pk_add_f32 v[100:101], v[12:13], v[18:19] neg_lo:[0,1] neg_hi:[0,1]
	v_pk_add_f32 v[138:139], v[140:141], v[138:139]
	v_mov_b32_e32 v140, v114
	v_mov_b32_e32 v141, v75
	v_pk_add_f32 v[62:63], v[18:19], v[12:13]
	v_pk_add_f32 v[2:3], v[140:141], v[2:3]
	v_pk_mul_f32 v[140:141], v[100:101], s[14:15] op_sel:[1,0] op_sel_hi:[0,0]
	v_accvgpr_write_b32 a65, v9
	v_pk_fma_f32 v[8:9], v[62:63], s[10:11], v[140:141] op_sel_hi:[1,0,1]
	v_pk_fma_f32 v[196:197], v[62:63], s[10:11], v[140:141] op_sel_hi:[1,0,1] neg_lo:[0,0,1] neg_hi:[0,0,1]
	v_mov_b32_e32 v140, v8
	v_mov_b32_e32 v141, v197
	v_pk_add_f32 v[94:95], v[140:141], v[94:95]
	v_pk_mul_f32 v[140:141], v[100:101], s[38:39] op_sel:[1,0] op_sel_hi:[0,0]
	v_mov_b32_e32 v173, v9
	v_pk_fma_f32 v[8:9], v[62:63], s[16:17], v[140:141] op_sel_hi:[1,0,1]
	v_pk_fma_f32 v[192:193], v[62:63], s[16:17], v[140:141] op_sel_hi:[1,0,1] neg_lo:[0,0,1] neg_hi:[0,0,1]
	v_mov_b32_e32 v140, v8
	v_mov_b32_e32 v141, v193
	v_pk_add_f32 v[96:97], v[140:141], v[96:97]
	v_pk_mul_f32 v[140:141], v[100:101], s[34:35] op_sel:[1,0] op_sel_hi:[0,0]
	v_mov_b32_e32 v169, v9
	v_pk_fma_f32 v[8:9], v[62:63], s[24:25], v[140:141] op_sel_hi:[1,0,1]
	v_pk_fma_f32 v[188:189], v[62:63], s[24:25], v[140:141] op_sel_hi:[1,0,1] neg_lo:[0,0,1] neg_hi:[0,0,1]
	v_mov_b32_e32 v140, v8
	v_mov_b32_e32 v141, v189
	v_pk_add_f32 v[136:137], v[140:141], v[136:137]
	v_pk_mul_f32 v[140:141], v[100:101], s[30:31] op_sel:[1,0] op_sel_hi:[0,0]
	v_mov_b32_e32 v165, v9
	v_pk_fma_f32 v[8:9], v[62:63], s[8:9], v[140:141] op_sel_hi:[1,0,1]
	v_pk_fma_f32 v[184:185], v[62:63], s[8:9], v[140:141] op_sel_hi:[1,0,1] neg_lo:[0,0,1] neg_hi:[0,0,1]
	v_mov_b32_e32 v140, v8
	v_mov_b32_e32 v141, v185
	s_mov_b32 s46, 0x3e750f2a
	v_pk_add_f32 v[138:139], v[140:141], v[138:139]
	v_pk_mul_f32 v[140:141], v[100:101], s[46:47] op_sel:[1,0] op_sel_hi:[0,0]
	v_accvgpr_write_b32 a75, v9
	v_pk_fma_f32 v[8:9], v[62:63], s[26:27], v[140:141] op_sel_hi:[1,0,1]
	v_pk_fma_f32 v[180:181], v[62:63], s[26:27], v[140:141] op_sel_hi:[1,0,1] neg_lo:[0,0,1] neg_hi:[0,0,1]
	v_pk_add_f32 v[144:145], v[14:15], v[16:17] neg_lo:[0,1] neg_hi:[0,1]
	v_mov_b32_e32 v140, v8
	v_mov_b32_e32 v141, v181
	v_pk_add_f32 v[58:59], v[16:17], v[14:15]
	v_pk_add_f32 v[2:3], v[140:141], v[2:3]
	v_pk_mul_f32 v[140:141], v[144:145], s[22:23] op_sel:[1,0] op_sel_hi:[0,0]
	v_accvgpr_write_b32 a73, v9
	v_pk_fma_f32 v[8:9], v[58:59], s[16:17], v[140:141] op_sel_hi:[1,0,1]
	v_pk_fma_f32 v[216:217], v[58:59], s[16:17], v[140:141] op_sel_hi:[1,0,1] neg_lo:[0,0,1] neg_hi:[0,0,1]
	v_mov_b32_e32 v140, v8
	v_mov_b32_e32 v141, v217
	v_pk_add_f32 v[94:95], v[140:141], v[94:95]
	v_pk_mul_f32 v[140:141], v[144:145], s[18:19] op_sel:[1,0] op_sel_hi:[0,0]
	v_mov_b32_e32 v193, v9
	v_pk_fma_f32 v[8:9], v[58:59], s[8:9], v[140:141] op_sel_hi:[1,0,1]
	v_pk_fma_f32 v[212:213], v[58:59], s[8:9], v[140:141] op_sel_hi:[1,0,1] neg_lo:[0,0,1] neg_hi:[0,0,1]
	v_mov_b32_e32 v140, v8
	v_mov_b32_e32 v141, v213
	v_pk_add_f32 v[96:97], v[140:141], v[96:97]
	v_pk_mul_f32 v[140:141], v[144:145], s[36:37] op_sel:[1,0] op_sel_hi:[0,0]
	v_mov_b32_e32 v189, v9
	;; [unrolled: 7-line block ×4, first 2 shown]
	v_pk_fma_f32 v[8:9], v[58:59], s[24:25], v[136:137] op_sel_hi:[1,0,1]
	v_pk_fma_f32 v[200:201], v[58:59], s[24:25], v[136:137] op_sel_hi:[1,0,1] neg_lo:[0,0,1] neg_hi:[0,0,1]
	v_mov_b32_e32 v136, v8
	v_mov_b32_e32 v137, v201
	v_pk_add_f32 v[148:149], v[136:137], v[2:3]
	v_pk_mul_f32 v[2:3], v[146:147], s[28:29] op_sel:[1,0] op_sel_hi:[0,0]
	v_accvgpr_write_b32 a77, v9
	v_pk_fma_f32 v[8:9], v[56:57], s[26:27], v[2:3] op_sel_hi:[1,0,1]
	v_pk_fma_f32 v[236:237], v[56:57], s[26:27], v[2:3] op_sel_hi:[1,0,1] neg_lo:[0,0,1] neg_hi:[0,0,1]
	v_mov_b32_e32 v2, v8
	v_mov_b32_e32 v3, v237
	v_pk_add_f32 v[2:3], v[2:3], v[94:95]
	v_pk_mul_f32 v[94:95], v[146:147], s[34:35] op_sel:[1,0] op_sel_hi:[0,0]
	v_accvgpr_write_b32 a31, v3
	v_accvgpr_write_b32 a30, v2
	v_pk_fma_f32 v[2:3], v[56:57], s[24:25], v[94:95] op_sel_hi:[1,0,1]
	v_pk_fma_f32 v[232:233], v[56:57], s[24:25], v[94:95] op_sel_hi:[1,0,1] neg_lo:[0,0,1] neg_hi:[0,0,1]
	v_mov_b32_e32 v94, v2
	v_mov_b32_e32 v95, v233
	;; [unrolled: 1-line block ×3, first 2 shown]
	v_pk_add_f32 v[2:3], v[94:95], v[96:97]
	v_pk_mul_f32 v[94:95], v[146:147], s[22:23] op_sel:[1,0] op_sel_hi:[0,0]
	v_accvgpr_write_b32 a33, v3
	v_pk_add_f32 v[246:247], v[30:31], v[44:45]
	v_pk_add_f32 v[82:83], v[44:45], v[30:31] neg_lo:[0,1] neg_hi:[0,1]
	v_accvgpr_write_b32 a32, v2
	v_pk_fma_f32 v[2:3], v[56:57], s[16:17], v[94:95] op_sel_hi:[1,0,1]
	v_pk_fma_f32 v[228:229], v[56:57], s[16:17], v[94:95] op_sel_hi:[1,0,1] neg_lo:[0,0,1] neg_hi:[0,0,1]
	v_pk_add_f32 v[44:45], v[238:239], v[44:45]
	v_mov_b32_e32 v94, v2
	v_mov_b32_e32 v95, v229
	v_pk_add_f32 v[44:45], v[44:45], v[46:47]
	v_pk_add_f32 v[242:243], v[34:35], v[40:41]
	v_pk_add_f32 v[78:79], v[40:41], v[34:35] neg_lo:[0,1] neg_hi:[0,1]
	v_mov_b32_e32 v205, v3
	v_pk_add_f32 v[2:3], v[94:95], v[140:141]
	s_mov_b32 s42, 0x3f52af12
	v_pk_add_f32 v[40:41], v[44:45], v[40:41]
	v_accvgpr_write_b32 a35, v3
	v_pk_mul_f32 v[94:95], v[146:147], s[42:43] op_sel:[1,0] op_sel_hi:[0,0]
	v_pk_add_f32 v[40:41], v[40:41], v[42:43]
	v_pk_add_f32 v[84:85], v[38:39], v[36:37]
	v_pk_add_f32 v[250:251], v[36:37], v[38:39] neg_lo:[0,1] neg_hi:[0,1]
	v_accvgpr_write_b32 a34, v2
	v_pk_fma_f32 v[2:3], v[56:57], s[20:21], v[94:95] op_sel_hi:[1,0,1]
	v_pk_fma_f32 v[224:225], v[56:57], s[20:21], v[94:95] op_sel_hi:[1,0,1] neg_lo:[0,0,1] neg_hi:[0,0,1]
	v_pk_add_f32 v[36:37], v[40:41], v[36:37]
	v_mov_b32_e32 v94, v2
	v_mov_b32_e32 v95, v225
	v_pk_add_f32 v[36:37], v[36:37], v[38:39]
	v_pk_add_f32 v[80:81], v[32:33], v[42:43]
	v_pk_add_f32 v[254:255], v[42:43], v[32:33] neg_lo:[0,1] neg_hi:[0,1]
	v_mov_b32_e32 v201, v3
	v_pk_add_f32 v[2:3], v[94:95], v[142:143]
	v_pk_add_f32 v[32:33], v[36:37], v[32:33]
	v_accvgpr_write_b32 a37, v3
	v_pk_mul_f32 v[94:95], v[146:147], s[14:15] op_sel:[1,0] op_sel_hi:[0,0]
	v_pk_add_f32 v[32:33], v[32:33], v[34:35]
	v_pk_add_f32 v[244:245], v[28:29], v[46:47]
	v_pk_add_f32 v[240:241], v[46:47], v[28:29] neg_lo:[0,1] neg_hi:[0,1]
	v_accvgpr_write_b32 a36, v2
	v_pk_fma_f32 v[2:3], v[56:57], s[10:11], v[94:95] op_sel_hi:[1,0,1]
	v_pk_fma_f32 v[220:221], v[56:57], s[10:11], v[94:95] op_sel_hi:[1,0,1] neg_lo:[0,0,1] neg_hi:[0,0,1]
	v_pk_add_f32 v[28:29], v[32:33], v[28:29]
	v_mov_b32_e32 v39, v249
	v_mov_b32_e32 v249, v90
	s_mov_b32 s25, s40
	v_mov_b32_e32 v94, v2
	v_mov_b32_e32 v95, v221
	v_pk_add_f32 v[28:29], v[28:29], v[30:31]
	v_mov_b32_e32 v38, v91
	s_mov_b32 s41, s24
	v_pk_mul_f32 v[46:47], v[248:249], s[24:25]
	v_accvgpr_write_b32 a79, v3
	v_pk_add_f32 v[2:3], v[94:95], v[148:149]
	v_pk_add_f32 v[94:95], v[28:29], v[252:253]
	v_pk_fma_f32 v[28:29], v[38:39], s[40:41], v[46:47] neg_lo:[1,0,0] neg_hi:[1,0,0]
	v_pk_fma_f32 v[44:45], v[38:39], s[40:41], v[46:47]
	s_mov_b32 s21, s36
	v_mov_b32_e32 v29, v45
	v_pk_add_f32 v[34:35], v[0:1], v[28:29]
	v_mov_b32_e32 v29, v247
	v_mov_b32_e32 v247, v82
	;; [unrolled: 1-line block ×3, first 2 shown]
	s_mov_b32 s37, s20
	v_pk_mul_f32 v[32:33], v[246:247], s[20:21]
	s_mov_b32 s9, s30
	v_pk_fma_f32 v[36:37], v[28:29], s[36:37], v[32:33] neg_lo:[1,0,0] neg_hi:[1,0,0]
	v_pk_fma_f32 v[30:31], v[28:29], s[36:37], v[32:33]
	s_mov_b32 s31, s8
	v_mov_b32_e32 v37, v31
	v_pk_add_f32 v[42:43], v[36:37], v[34:35]
	v_mov_b32_e32 v35, v245
	v_mov_b32_e32 v245, v240
	;; [unrolled: 1-line block ×3, first 2 shown]
	v_pk_mul_f32 v[40:41], v[244:245], s[8:9]
	s_mov_b32 s11, s14
	v_pk_fma_f32 v[82:83], v[34:35], s[30:31], v[40:41] neg_lo:[1,0,0] neg_hi:[1,0,0]
	v_pk_fma_f32 v[36:37], v[34:35], s[30:31], v[40:41]
	s_mov_b32 s15, s10
	v_mov_b32_e32 v83, v37
	v_pk_add_f32 v[82:83], v[82:83], v[42:43]
	v_mov_b32_e32 v43, v243
	v_mov_b32_e32 v243, v78
	;; [unrolled: 1-line block ×3, first 2 shown]
	v_pk_mul_f32 v[252:253], v[242:243], s[10:11]
	v_mov_b32_e32 v241, v81
	v_pk_fma_f32 v[90:91], v[42:43], s[14:15], v[252:253] neg_lo:[1,0,0] neg_hi:[1,0,0]
	v_pk_fma_f32 v[78:79], v[42:43], s[14:15], v[252:253]
	v_mov_b32_e32 v81, v254
	v_mov_b32_e32 v91, v79
	s_mov_b32 s17, s22
	v_pk_add_f32 v[90:91], v[90:91], v[82:83]
	v_mov_b32_e32 v240, v255
	s_mov_b32 s23, s16
	v_pk_mul_f32 v[82:83], v[80:81], s[16:17]
	v_mov_b32_e32 v239, v85
	v_pk_fma_f32 v[96:97], v[240:241], s[22:23], v[82:83] neg_lo:[1,0,0] neg_hi:[1,0,0]
	v_pk_fma_f32 v[254:255], v[240:241], s[22:23], v[82:83]
	v_mov_b32_e32 v85, v250
	v_mov_b32_e32 v97, v255
	s_mov_b32 s27, s28
	v_pk_add_f32 v[96:97], v[96:97], v[90:91]
	v_mov_b32_e32 v238, v251
	s_mov_b32 s29, s26
	v_pk_mul_f32 v[90:91], v[84:85], s[26:27]
	v_accvgpr_write_b32 a39, v3
	v_pk_fma_f32 v[148:149], v[238:239], s[28:29], v[90:91] neg_lo:[1,0,0] neg_hi:[1,0,0]
	v_pk_fma_f32 v[250:251], v[238:239], s[28:29], v[90:91]
	v_accvgpr_write_b32 a38, v2
	v_mul_lo_u16_e32 v2, 13, v64
	v_mov_b32_e32 v149, v251
	v_lshl_add_u32 v126, v2, 3, v66
	v_pk_add_f32 v[96:97], v[148:149], v[96:97]
	v_pk_mul_f32 v[166:167], v[248:249], s[20:21]
	s_waitcnt lgkmcnt(0)
	; wave barrier
	ds_write2_b64 v126, v[94:95], v[96:97] offset1:1
	v_pk_fma_f32 v[94:95], v[38:39], s[36:37], v[166:167] neg_lo:[1,0,0] neg_hi:[1,0,0]
	v_pk_fma_f32 v[148:149], v[38:39], s[36:37], v[166:167]
	v_pk_mul_f32 v[152:153], v[246:247], s[10:11]
	v_mov_b32_e32 v95, v149
	v_pk_add_f32 v[96:97], v[0:1], v[94:95]
	v_pk_fma_f32 v[156:157], v[28:29], s[14:15], v[152:153] neg_lo:[1,0,0] neg_hi:[1,0,0]
	v_pk_fma_f32 v[94:95], v[28:29], s[14:15], v[152:153]
	s_mov_b32 s50, s16
	v_mov_b32_e32 v157, v95
	v_pk_add_f32 v[160:161], v[156:157], v[96:97]
	v_pk_mul_f32 v[156:157], v[244:245], s[26:27]
	s_mov_b32 s51, s38
	v_pk_fma_f32 v[162:163], v[34:35], s[28:29], v[156:157] neg_lo:[1,0,0] neg_hi:[1,0,0]
	v_pk_fma_f32 v[96:97], v[34:35], s[28:29], v[156:157]
	s_mov_b32 s39, s16
	v_mov_b32_e32 v163, v97
	v_pk_add_f32 v[170:171], v[162:163], v[160:161]
	v_pk_mul_f32 v[162:163], v[242:243], s[50:51]
	s_mov_b32 s48, s8
	v_pk_fma_f32 v[174:175], v[42:43], s[38:39], v[162:163] neg_lo:[1,0,0] neg_hi:[1,0,0]
	v_pk_fma_f32 v[160:161], v[42:43], s[38:39], v[162:163]
	s_mov_b32 s49, s18
	v_mov_b32_e32 v175, v161
	v_pk_add_f32 v[178:179], v[174:175], v[170:171]
	s_mov_b32 s19, s8
	v_pk_mul_f32 v[174:175], v[80:81], s[48:49]
	s_mov_b32 s25, s34
	v_pk_fma_f32 v[182:183], v[240:241], s[18:19], v[174:175] neg_lo:[1,0,0] neg_hi:[1,0,0]
	v_pk_fma_f32 v[170:171], v[240:241], s[18:19], v[174:175]
	s_mov_b32 s35, s24
	v_mov_b32_e32 v183, v171
	v_pk_add_f32 v[186:187], v[182:183], v[178:179]
	v_pk_mul_f32 v[182:183], v[84:85], s[24:25]
	v_pk_mul_f32 v[198:199], v[248:249], s[8:9]
	v_pk_fma_f32 v[190:191], v[238:239], s[34:35], v[182:183] neg_lo:[1,0,0] neg_hi:[1,0,0]
	v_pk_fma_f32 v[178:179], v[238:239], s[34:35], v[182:183]
	v_pk_fma_f32 v[194:195], v[38:39], s[30:31], v[198:199]
	v_mov_b32_e32 v191, v179
	v_pk_add_f32 v[136:137], v[190:191], v[186:187]
	v_pk_fma_f32 v[186:187], v[38:39], s[30:31], v[198:199] neg_lo:[1,0,0] neg_hi:[1,0,0]
	v_pk_mul_f32 v[190:191], v[246:247], s[26:27]
	v_mov_b32_e32 v187, v195
	v_pk_add_f32 v[202:203], v[0:1], v[186:187]
	v_pk_fma_f32 v[206:207], v[28:29], s[28:29], v[190:191] neg_lo:[1,0,0] neg_hi:[1,0,0]
	v_pk_fma_f32 v[186:187], v[28:29], s[28:29], v[190:191]
	s_mov_b32 s52, s10
	v_mov_b32_e32 v207, v187
	s_mov_b32 s53, s44
	v_pk_add_f32 v[210:211], v[206:207], v[202:203]
	s_mov_b32 s45, s10
	v_pk_mul_f32 v[206:207], v[244:245], s[52:53]
	v_pk_mul_f32 v[142:143], v[246:247], s[50:51]
	v_pk_fma_f32 v[214:215], v[34:35], s[44:45], v[206:207] neg_lo:[1,0,0] neg_hi:[1,0,0]
	v_pk_fma_f32 v[202:203], v[34:35], s[44:45], v[206:207]
	v_pk_fma_f32 v[234:235], v[28:29], s[38:39], v[142:143] neg_lo:[1,0,0] neg_hi:[1,0,0]
	v_mov_b32_e32 v215, v203
	v_pk_add_f32 v[218:219], v[214:215], v[210:211]
	v_pk_mul_f32 v[214:215], v[242:243], s[24:25]
	v_pk_fma_f32 v[2:3], v[28:29], s[38:39], v[142:143]
	v_pk_fma_f32 v[222:223], v[42:43], s[34:35], v[214:215] neg_lo:[1,0,0] neg_hi:[1,0,0]
	v_pk_fma_f32 v[210:211], v[42:43], s[34:35], v[214:215]
	v_mov_b32_e32 v235, v3
	v_mov_b32_e32 v223, v211
	v_pk_add_f32 v[226:227], v[222:223], v[218:219]
	v_pk_mul_f32 v[222:223], v[80:81], s[20:21]
	v_accvgpr_write_b32 a62, v110
	v_pk_fma_f32 v[230:231], v[240:241], s[36:37], v[222:223] neg_lo:[1,0,0] neg_hi:[1,0,0]
	v_pk_fma_f32 v[218:219], v[240:241], s[36:37], v[222:223]
	v_accvgpr_write_b32 a63, v111
	v_mov_b32_e32 v231, v219
	v_pk_add_f32 v[138:139], v[230:231], v[226:227]
	v_pk_mul_f32 v[230:231], v[84:85], s[16:17]
	v_mov_b32_e32 v103, v109
	v_pk_fma_f32 v[226:227], v[238:239], s[22:23], v[230:231] neg_lo:[1,0,0] neg_hi:[1,0,0]
	v_pk_fma_f32 v[140:141], v[238:239], s[22:23], v[230:231]
	v_mov_b32_e32 v151, v113
	v_mov_b32_e32 v227, v141
	v_pk_add_f32 v[138:139], v[226:227], v[138:139]
	ds_write2_b64 v126, v[136:137], v[138:139] offset0:2 offset1:3
	v_pk_mul_f32 v[136:137], v[248:249], s[10:11]
	v_mov_b32_e32 v155, v115
	v_pk_fma_f32 v[138:139], v[38:39], s[14:15], v[136:137] neg_lo:[1,0,0] neg_hi:[1,0,0]
	v_pk_fma_f32 v[226:227], v[38:39], s[14:15], v[136:137]
	s_mov_b32 s50, s26
	v_mov_b32_e32 v139, v227
	v_pk_add_f32 v[138:139], v[0:1], v[138:139]
	s_mov_b32 s51, s46
	v_pk_add_f32 v[138:139], v[234:235], v[138:139]
	v_pk_mul_f32 v[234:235], v[244:245], s[24:25]
	s_mov_b32 s47, s26
	v_pk_fma_f32 v[108:109], v[34:35], s[34:35], v[234:235] neg_lo:[1,0,0] neg_hi:[1,0,0]
	v_pk_fma_f32 v[110:111], v[34:35], s[34:35], v[234:235]
	s_mov_b32 s52, s20
	v_mov_b32_e32 v109, v111
	v_pk_add_f32 v[108:109], v[108:109], v[138:139]
	v_pk_mul_f32 v[138:139], v[242:243], s[8:9]
	s_mov_b32 s53, s42
	v_pk_fma_f32 v[112:113], v[42:43], s[30:31], v[138:139] neg_lo:[1,0,0] neg_hi:[1,0,0]
	v_pk_fma_f32 v[114:115], v[42:43], s[30:31], v[138:139]
	s_mov_b32 s43, s20
	v_mov_b32_e32 v113, v115
	v_pk_add_f32 v[108:109], v[112:113], v[108:109]
	v_pk_mul_f32 v[112:113], v[80:81], s[50:51]
	v_pk_mul_f32 v[130:131], v[246:247], s[48:49]
	v_pk_fma_f32 v[116:117], v[240:241], s[46:47], v[112:113] neg_lo:[1,0,0] neg_hi:[1,0,0]
	v_pk_fma_f32 v[118:119], v[240:241], s[46:47], v[112:113]
	v_pk_fma_f32 v[132:133], v[28:29], s[18:19], v[130:131] neg_lo:[1,0,0] neg_hi:[1,0,0]
	v_mov_b32_e32 v117, v119
	v_pk_add_f32 v[108:109], v[116:117], v[108:109]
	v_pk_mul_f32 v[116:117], v[84:85], s[52:53]
	v_pk_fma_f32 v[134:135], v[28:29], s[18:19], v[130:131]
	v_pk_fma_f32 v[120:121], v[238:239], s[42:43], v[116:117] neg_lo:[1,0,0] neg_hi:[1,0,0]
	v_pk_fma_f32 v[122:123], v[238:239], s[42:43], v[116:117]
	v_mov_b32_e32 v133, v135
	v_mov_b32_e32 v121, v123
	v_pk_add_f32 v[108:109], v[120:121], v[108:109]
	v_pk_mul_f32 v[120:121], v[248:249], s[16:17]
	v_accvgpr_write_b32 a48, v48
	v_pk_fma_f32 v[124:125], v[38:39], s[22:23], v[120:121] neg_lo:[1,0,0] neg_hi:[1,0,0]
	v_pk_fma_f32 v[128:129], v[38:39], s[22:23], v[120:121]
	v_accvgpr_write_b32 a49, v49
	v_mov_b32_e32 v125, v129
	v_pk_add_f32 v[124:125], v[0:1], v[124:125]
	v_accvgpr_write_b32 a56, v74
	v_pk_add_f32 v[124:125], v[132:133], v[124:125]
	v_pk_mul_f32 v[132:133], v[244:245], s[20:21]
	v_accvgpr_write_b32 a44, v52
	v_pk_fma_f32 v[48:49], v[34:35], s[36:37], v[132:133] neg_lo:[1,0,0] neg_hi:[1,0,0]
	v_pk_fma_f32 v[74:75], v[34:35], s[36:37], v[132:133]
	v_mov_b32_e32 v213, v9
	v_mov_b32_e32 v49, v75
	v_pk_add_f32 v[48:49], v[48:49], v[124:125]
	v_pk_mul_f32 v[124:125], v[242:243], s[50:51]
	v_accvgpr_write_b32 a61, v11
	v_pk_fma_f32 v[52:53], v[42:43], s[46:47], v[124:125] neg_lo:[1,0,0] neg_hi:[1,0,0]
	v_pk_fma_f32 v[8:9], v[42:43], s[46:47], v[124:125]
	v_accvgpr_write_b32 a0, v64
	v_mov_b32_e32 v53, v9
	v_pk_add_f32 v[10:11], v[52:53], v[48:49]
	v_pk_mul_f32 v[48:49], v[80:81], s[24:25]
	v_accvgpr_write_b32 a50, v68
	v_pk_fma_f32 v[52:53], v[240:241], s[34:35], v[48:49] neg_lo:[1,0,0] neg_hi:[1,0,0]
	v_pk_fma_f32 v[64:65], v[240:241], s[34:35], v[48:49]
	v_accvgpr_write_b32 a1, v66
	v_mov_b32_e32 v53, v65
	v_pk_add_f32 v[10:11], v[52:53], v[10:11]
	v_pk_mul_f32 v[52:53], v[84:85], s[10:11]
	v_pk_mul_f32 v[246:247], v[246:247], s[24:25]
	v_pk_fma_f32 v[66:67], v[238:239], s[14:15], v[52:53] neg_lo:[1,0,0] neg_hi:[1,0,0]
	v_pk_fma_f32 v[68:69], v[238:239], s[14:15], v[52:53]
	v_accvgpr_write_b32 a52, v70
	v_mov_b32_e32 v67, v69
	v_pk_add_f32 v[10:11], v[66:67], v[10:11]
	ds_write2_b64 v126, v[108:109], v[10:11] offset0:4 offset1:5
	v_pk_mul_f32 v[10:11], v[248:249], s[26:27]
	v_pk_fma_f32 v[248:249], v[28:29], s[34:35], v[246:247] neg_lo:[1,0,0] neg_hi:[1,0,0]
	v_pk_fma_f32 v[66:67], v[38:39], s[28:29], v[10:11] neg_lo:[1,0,0] neg_hi:[1,0,0]
	v_pk_fma_f32 v[108:109], v[38:39], s[28:29], v[10:11]
	v_pk_fma_f32 v[70:71], v[28:29], s[34:35], v[246:247]
	v_mov_b32_e32 v67, v109
	v_pk_add_f32 v[66:67], v[0:1], v[66:67]
	v_mov_b32_e32 v249, v71
	v_pk_mul_f32 v[244:245], v[244:245], s[16:17]
	v_pk_fma_f32 v[10:11], v[38:39], s[28:29], v[10:11] neg_lo:[0,0,1] neg_hi:[0,0,1]
	v_accvgpr_write_b32 a54, v72
	v_pk_add_f32 v[66:67], v[248:249], v[66:67]
	v_pk_fma_f32 v[248:249], v[34:35], s[22:23], v[244:245] neg_lo:[1,0,0] neg_hi:[1,0,0]
	v_pk_fma_f32 v[72:73], v[34:35], s[22:23], v[244:245]
	v_mov_b32_e32 v109, v11
	v_mov_b32_e32 v249, v73
	v_pk_mul_f32 v[242:243], v[242:243], s[52:53]
	v_pk_add_f32 v[10:11], v[0:1], v[108:109]
	v_pk_fma_f32 v[108:109], v[28:29], s[34:35], v[246:247] neg_lo:[0,0,1] neg_hi:[0,0,1]
	v_pk_add_f32 v[66:67], v[248:249], v[66:67]
	v_pk_fma_f32 v[248:249], v[42:43], s[42:43], v[242:243] neg_lo:[1,0,0] neg_hi:[1,0,0]
	v_pk_fma_f32 v[76:77], v[42:43], s[42:43], v[242:243]
	v_mov_b32_e32 v71, v109
	v_mov_b32_e32 v249, v77
	v_pk_mul_f32 v[80:81], v[80:81], s[10:11]
	v_pk_add_f32 v[10:11], v[70:71], v[10:11]
	v_pk_fma_f32 v[70:71], v[34:35], s[22:23], v[244:245] neg_lo:[0,0,1] neg_hi:[0,0,1]
	v_mov_b32_e32 v87, v89
	v_pk_add_f32 v[66:67], v[248:249], v[66:67]
	v_pk_fma_f32 v[248:249], v[240:241], s[14:15], v[80:81] neg_lo:[1,0,0] neg_hi:[1,0,0]
	v_pk_fma_f32 v[88:89], v[240:241], s[14:15], v[80:81]
	v_mov_b32_e32 v73, v71
	v_pk_fma_f32 v[70:71], v[42:43], s[42:43], v[242:243] neg_lo:[0,0,1] neg_hi:[0,0,1]
	v_mov_b32_e32 v249, v89
	v_pk_mul_f32 v[84:85], v[84:85], s[48:49]
	v_pk_add_f32 v[10:11], v[72:73], v[10:11]
	v_mov_b32_e32 v77, v71
	v_pk_fma_f32 v[70:71], v[240:241], s[14:15], v[80:81] neg_lo:[0,0,1] neg_hi:[0,0,1]
	v_mov_b32_e32 v93, v105
	v_pk_add_f32 v[66:67], v[248:249], v[66:67]
	v_pk_fma_f32 v[248:249], v[238:239], s[18:19], v[84:85] neg_lo:[1,0,0] neg_hi:[1,0,0]
	v_pk_fma_f32 v[104:105], v[238:239], s[18:19], v[84:85]
	v_pk_add_f32 v[10:11], v[76:77], v[10:11]
	v_mov_b32_e32 v89, v71
	v_pk_fma_f32 v[70:71], v[238:239], s[18:19], v[84:85] neg_lo:[0,0,1] neg_hi:[0,0,1]
	v_mov_b32_e32 v249, v105
	v_pk_add_f32 v[10:11], v[88:89], v[10:11]
	v_mov_b32_e32 v105, v71
	v_pk_add_f32 v[66:67], v[248:249], v[66:67]
	v_pk_add_f32 v[10:11], v[104:105], v[10:11]
	ds_write2_b64 v126, v[66:67], v[10:11] offset0:6 offset1:7
	v_pk_fma_f32 v[10:11], v[38:39], s[22:23], v[120:121] neg_lo:[0,0,1] neg_hi:[0,0,1]
	v_pk_fma_f32 v[66:67], v[28:29], s[18:19], v[130:131] neg_lo:[0,0,1] neg_hi:[0,0,1]
	v_mov_b32_e32 v129, v11
	v_pk_add_f32 v[10:11], v[0:1], v[128:129]
	v_mov_b32_e32 v135, v67
	v_pk_fma_f32 v[66:67], v[34:35], s[36:37], v[132:133] neg_lo:[0,0,1] neg_hi:[0,0,1]
	v_pk_add_f32 v[10:11], v[134:135], v[10:11]
	v_mov_b32_e32 v75, v67
	v_pk_fma_f32 v[66:67], v[42:43], s[46:47], v[124:125] neg_lo:[0,0,1] neg_hi:[0,0,1]
	v_pk_add_f32 v[10:11], v[74:75], v[10:11]
	v_mov_b32_e32 v9, v67
	v_pk_add_f32 v[8:9], v[8:9], v[10:11]
	v_pk_fma_f32 v[10:11], v[240:241], s[34:35], v[48:49] neg_lo:[0,0,1] neg_hi:[0,0,1]
	v_pk_fma_f32 v[48:49], v[28:29], s[38:39], v[142:143] neg_lo:[0,0,1] neg_hi:[0,0,1]
	v_mov_b32_e32 v65, v11
	v_pk_fma_f32 v[10:11], v[238:239], s[14:15], v[52:53] neg_lo:[0,0,1] neg_hi:[0,0,1]
	v_mov_b32_e32 v3, v49
	v_mov_b32_e32 v69, v11
	v_pk_fma_f32 v[10:11], v[38:39], s[14:15], v[136:137] neg_lo:[0,0,1] neg_hi:[0,0,1]
	v_pk_add_f32 v[8:9], v[64:65], v[8:9]
	v_mov_b32_e32 v227, v11
	v_pk_add_f32 v[10:11], v[0:1], v[226:227]
	v_pk_add_f32 v[8:9], v[68:69], v[8:9]
	;; [unrolled: 1-line block ×3, first 2 shown]
	v_pk_fma_f32 v[10:11], v[34:35], s[34:35], v[234:235] neg_lo:[0,0,1] neg_hi:[0,0,1]
	v_accvgpr_read_b32 v66, a1
	v_mov_b32_e32 v111, v11
	v_pk_fma_f32 v[10:11], v[42:43], s[30:31], v[138:139] neg_lo:[0,0,1] neg_hi:[0,0,1]
	v_pk_add_f32 v[2:3], v[110:111], v[2:3]
	v_mov_b32_e32 v115, v11
	v_pk_fma_f32 v[10:11], v[240:241], s[46:47], v[112:113] neg_lo:[0,0,1] neg_hi:[0,0,1]
	v_pk_add_f32 v[2:3], v[114:115], v[2:3]
	;; [unrolled: 3-line block ×3, first 2 shown]
	v_mov_b32_e32 v123, v11
	v_pk_add_f32 v[2:3], v[122:123], v[2:3]
	ds_write2_b64 v126, v[8:9], v[2:3] offset0:8 offset1:9
	v_pk_fma_f32 v[8:9], v[28:29], s[28:29], v[190:191] neg_lo:[0,0,1] neg_hi:[0,0,1]
	v_pk_fma_f32 v[2:3], v[38:39], s[30:31], v[198:199] neg_lo:[0,0,1] neg_hi:[0,0,1]
	v_mov_b32_e32 v187, v9
	v_pk_fma_f32 v[8:9], v[34:35], s[44:45], v[206:207] neg_lo:[0,0,1] neg_hi:[0,0,1]
	v_mov_b32_e32 v195, v3
	v_mov_b32_e32 v203, v9
	v_pk_fma_f32 v[8:9], v[42:43], s[34:35], v[214:215] neg_lo:[0,0,1] neg_hi:[0,0,1]
	v_pk_fma_f32 v[10:11], v[28:29], s[14:15], v[152:153] neg_lo:[0,0,1] neg_hi:[0,0,1]
	v_mov_b32_e32 v211, v9
	v_pk_fma_f32 v[8:9], v[240:241], s[36:37], v[222:223] neg_lo:[0,0,1] neg_hi:[0,0,1]
	v_pk_add_f32 v[2:3], v[0:1], v[194:195]
	v_mov_b32_e32 v219, v9
	v_pk_fma_f32 v[8:9], v[238:239], s[22:23], v[230:231] neg_lo:[0,0,1] neg_hi:[0,0,1]
	v_mov_b32_e32 v95, v11
	v_mov_b32_e32 v141, v9
	v_pk_fma_f32 v[8:9], v[38:39], s[36:37], v[166:167] neg_lo:[0,0,1] neg_hi:[0,0,1]
	v_pk_fma_f32 v[10:11], v[34:35], s[28:29], v[156:157] neg_lo:[0,0,1] neg_hi:[0,0,1]
	v_mov_b32_e32 v149, v9
	v_pk_add_f32 v[8:9], v[0:1], v[148:149]
	v_pk_add_f32 v[2:3], v[186:187], v[2:3]
	;; [unrolled: 1-line block ×3, first 2 shown]
	v_mov_b32_e32 v97, v11
	v_pk_fma_f32 v[10:11], v[42:43], s[38:39], v[162:163] neg_lo:[0,0,1] neg_hi:[0,0,1]
	v_pk_add_f32 v[2:3], v[202:203], v[2:3]
	v_pk_add_f32 v[8:9], v[96:97], v[8:9]
	v_mov_b32_e32 v161, v11
	v_pk_fma_f32 v[10:11], v[240:241], s[18:19], v[174:175] neg_lo:[0,0,1] neg_hi:[0,0,1]
	v_pk_add_f32 v[2:3], v[210:211], v[2:3]
	v_pk_add_f32 v[8:9], v[160:161], v[8:9]
	;; [unrolled: 4-line block ×3, first 2 shown]
	v_mov_b32_e32 v179, v11
	v_pk_add_f32 v[2:3], v[140:141], v[2:3]
	v_pk_add_f32 v[8:9], v[178:179], v[8:9]
	ds_write2_b64 v126, v[2:3], v[8:9] offset0:10 offset1:11
	v_pk_fma_f32 v[2:3], v[38:39], s[40:41], v[46:47] neg_lo:[0,0,1] neg_hi:[0,0,1]
	s_nop 0
	v_mov_b32_e32 v45, v3
	v_pk_fma_f32 v[2:3], v[28:29], s[36:37], v[32:33] neg_lo:[0,0,1] neg_hi:[0,0,1]
	v_pk_add_f32 v[0:1], v[0:1], v[44:45]
	v_mov_b32_e32 v31, v3
	v_pk_fma_f32 v[2:3], v[34:35], s[30:31], v[40:41] neg_lo:[0,0,1] neg_hi:[0,0,1]
	v_pk_add_f32 v[0:1], v[30:31], v[0:1]
	;; [unrolled: 3-line block ×5, first 2 shown]
	v_mov_b32_e32 v251, v3
	v_pk_add_f32 v[0:1], v[250:251], v[0:1]
	ds_write_b64 v126, v[0:1] offset:96
	v_accvgpr_read_b32 v0, a58
	v_mul_u32_u24_e32 v0, 13, v0
	v_accvgpr_write_b32 a45, v0
	s_and_saveexec_b64 s[30:31], vcc
	s_cbranch_execz .LBB0_7
; %bb.6:
	v_pk_add_f32 v[6:7], v[6:7], v[4:5]
	v_mov_b32_e32 v33, v93
	v_pk_add_f32 v[6:7], v[20:21], v[6:7]
	v_accvgpr_read_b32 v93, a53
	v_pk_add_f32 v[6:7], v[22:23], v[6:7]
	v_accvgpr_read_b32 v159, a59
	;; [unrolled: 2-line block ×4, first 2 shown]
	v_accvgpr_read_b32 v13, a41
	v_accvgpr_read_b32 v14, a42
	;; [unrolled: 1-line block ×3, first 2 shown]
	v_pk_add_f32 v[6:7], v[12:13], v[6:7]
	v_accvgpr_read_b32 v12, a46
	v_pk_add_f32 v[6:7], v[14:15], v[6:7]
	v_accvgpr_read_b32 v13, a47
	v_pk_add_f32 v[6:7], v[16:17], v[6:7]
	v_mov_b32_e32 v197, v173
	v_pk_add_f32 v[6:7], v[18:19], v[6:7]
	v_mov_b32_e32 v217, v193
	v_pk_add_f32 v[6:7], v[24:25], v[6:7]
	v_accvgpr_read_b32 v30, a45
	v_pk_add_f32 v[6:7], v[26:27], v[6:7]
	v_mov_b32_e32 v237, v213
	v_pk_add_f32 v[6:7], v[12:13], v[6:7]
	v_pk_add_f32 v[12:13], v[92:93], v[4:5]
	v_accvgpr_read_b32 v36, a52
	v_pk_add_f32 v[12:13], v[158:159], v[12:13]
	v_mov_b32_e32 v37, v87
	v_pk_add_f32 v[12:13], v[176:177], v[12:13]
	v_lshl_add_u32 v30, v30, 3, v66
	v_pk_add_f32 v[12:13], v[196:197], v[12:13]
	v_accvgpr_read_b32 v87, a51
	v_pk_add_f32 v[12:13], v[216:217], v[12:13]
	v_mov_b32_e32 v39, v151
	v_pk_add_f32 v[12:13], v[236:237], v[12:13]
	v_mov_b32_e32 v41, v155
	ds_write2_b64 v30, v[6:7], v[12:13] offset1:1
	v_pk_add_f32 v[6:7], v[86:87], v[4:5]
	v_accvgpr_read_b32 v155, a57
	v_pk_add_f32 v[12:13], v[36:37], v[4:5]
	v_accvgpr_read_b32 v151, a55
	;; [unrolled: 2-line block ×3, first 2 shown]
	v_mov_b32_e32 v193, v169
	v_pk_add_f32 v[12:13], v[150:151], v[12:13]
	v_accvgpr_read_b32 v169, a67
	v_pk_add_f32 v[6:7], v[172:173], v[6:7]
	v_mov_b32_e32 v213, v189
	v_pk_add_f32 v[12:13], v[168:169], v[12:13]
	v_mov_b32_e32 v189, v165
	;; [unrolled: 2-line block ×4, first 2 shown]
	v_pk_add_f32 v[6:7], v[212:213], v[6:7]
	v_pk_add_f32 v[12:13], v[208:209], v[12:13]
	v_mov_b32_e32 v229, v205
	v_accvgpr_read_b32 v42, a60
	v_accvgpr_read_b32 v43, a61
	;; [unrolled: 1-line block ×3, first 2 shown]
	v_pk_add_f32 v[6:7], v[232:233], v[6:7]
	v_pk_add_f32 v[12:13], v[228:229], v[12:13]
	v_accvgpr_read_b32 v38, a54
	v_accvgpr_read_b32 v34, a50
	v_mov_b32_e32 v35, v103
	ds_write2_b64 v30, v[6:7], v[12:13] offset0:2 offset1:3
	v_pk_add_f32 v[6:7], v[32:33], v[4:5]
	v_pk_add_f32 v[12:13], v[42:43], v[4:5]
	v_accvgpr_read_b32 v40, a56
	v_pk_add_f32 v[6:7], v[34:35], v[6:7]
	v_accvgpr_read_b32 v165, a65
	v_pk_add_f32 v[12:13], v[38:39], v[12:13]
	v_pk_add_f32 v[6:7], v[164:165], v[6:7]
	v_accvgpr_read_b32 v185, a75
	v_mov_b32_e32 v205, v181
	v_pk_add_f32 v[12:13], v[40:41], v[12:13]
	v_accvgpr_read_b32 v181, a73
	v_pk_add_f32 v[6:7], v[184:185], v[6:7]
	v_mov_b32_e32 v225, v201
	v_pk_add_f32 v[12:13], v[180:181], v[12:13]
	v_accvgpr_read_b32 v201, a77
	v_pk_add_f32 v[6:7], v[204:205], v[6:7]
	v_pk_add_f32 v[12:13], v[200:201], v[12:13]
	v_accvgpr_read_b32 v221, a79
	v_pk_add_f32 v[6:7], v[224:225], v[6:7]
	v_pk_add_f32 v[12:13], v[220:221], v[12:13]
	ds_write2_b64 v30, v[6:7], v[12:13] offset0:4 offset1:5
	v_accvgpr_read_b32 v6, a48
	v_accvgpr_read_b32 v7, a49
	v_accvgpr_read_b32 v0, a63
	v_accvgpr_read_b32 v1, a62
	v_pk_mul_f32 v[6:7], v[6:7], s[28:29] op_sel_hi:[1,0]
	v_pk_mul_f32 v[0:1], v[0:1], s[34:35] op_sel_hi:[1,0]
	v_pk_fma_f32 v[12:13], v[50:51], s[26:27], v[6:7] op_sel:[0,0,1] op_sel_hi:[1,0,0] neg_lo:[0,0,1] neg_hi:[0,0,1]
	v_pk_fma_f32 v[6:7], v[50:51], s[26:27], v[6:7] op_sel:[0,0,1] op_sel_hi:[1,0,0]
	v_mov_b32_e32 v2, v99
	v_mov_b32_e32 v3, v98
	;; [unrolled: 1-line block ×4, first 2 shown]
	v_pk_fma_f32 v[16:17], v[54:55], s[24:25], v[0:1] op_sel_hi:[1,0,1] neg_lo:[0,0,1] neg_hi:[0,0,1]
	v_pk_fma_f32 v[0:1], v[54:55], s[24:25], v[0:1] op_sel_hi:[1,0,1]
	v_pk_add_f32 v[14:15], v[14:15], v[4:5]
	v_mov_b32_e32 v18, v16
	v_mov_b32_e32 v19, v1
	v_pk_mul_f32 v[2:3], v[2:3], s[22:23] op_sel_hi:[1,0]
	v_mov_b32_e32 v8, v101
	v_mov_b32_e32 v9, v100
	v_pk_add_f32 v[14:15], v[18:19], v[14:15]
	v_pk_fma_f32 v[18:19], v[60:61], s[16:17], v[2:3] op_sel_hi:[1,0,1] neg_lo:[0,0,1] neg_hi:[0,0,1]
	v_pk_fma_f32 v[2:3], v[60:61], s[16:17], v[2:3] op_sel_hi:[1,0,1]
	v_mov_b32_e32 v20, v18
	v_mov_b32_e32 v21, v3
	v_pk_mul_f32 v[8:9], v[8:9], s[42:43] op_sel_hi:[1,0]
	v_mov_b32_e32 v10, v145
	v_mov_b32_e32 v11, v144
	v_pk_add_f32 v[14:15], v[20:21], v[14:15]
	v_pk_fma_f32 v[20:21], v[62:63], s[20:21], v[8:9] op_sel_hi:[1,0,1] neg_lo:[0,0,1] neg_hi:[0,0,1]
	v_pk_fma_f32 v[8:9], v[62:63], s[20:21], v[8:9] op_sel_hi:[1,0,1]
	v_mov_b32_e32 v22, v20
	v_mov_b32_e32 v23, v9
	v_pk_mul_f32 v[10:11], v[10:11], s[14:15] op_sel_hi:[1,0]
	v_mov_b32_e32 v7, v13
	v_pk_add_f32 v[14:15], v[22:23], v[14:15]
	v_pk_fma_f32 v[22:23], v[58:59], s[10:11], v[10:11] op_sel_hi:[1,0,1] neg_lo:[0,0,1] neg_hi:[0,0,1]
	v_pk_fma_f32 v[10:11], v[58:59], s[10:11], v[10:11] op_sel_hi:[1,0,1]
	v_pk_add_f32 v[4:5], v[6:7], v[4:5]
	v_mov_b32_e32 v1, v17
	v_mov_b32_e32 v28, v147
	;; [unrolled: 1-line block ×5, first 2 shown]
	v_pk_add_f32 v[0:1], v[0:1], v[4:5]
	v_mov_b32_e32 v3, v19
	v_pk_add_f32 v[14:15], v[24:25], v[14:15]
	v_pk_mul_f32 v[24:25], v[28:29], s[18:19] op_sel_hi:[1,0]
	v_pk_add_f32 v[0:1], v[2:3], v[0:1]
	v_mov_b32_e32 v9, v21
	v_pk_fma_f32 v[26:27], v[56:57], s[8:9], v[24:25] op_sel_hi:[1,0,1] neg_lo:[0,0,1] neg_hi:[0,0,1]
	v_pk_fma_f32 v[24:25], v[56:57], s[8:9], v[24:25] op_sel_hi:[1,0,1]
	v_pk_add_f32 v[0:1], v[8:9], v[0:1]
	v_mov_b32_e32 v11, v23
	v_mov_b32_e32 v28, v26
	;; [unrolled: 1-line block ×3, first 2 shown]
	v_pk_add_f32 v[0:1], v[10:11], v[0:1]
	v_mov_b32_e32 v25, v27
	v_pk_add_f32 v[14:15], v[28:29], v[14:15]
	v_pk_add_f32 v[0:1], v[24:25], v[0:1]
	ds_write2_b64 v30, v[14:15], v[0:1] offset0:6 offset1:7
	v_accvgpr_read_b32 v0, a36
	v_accvgpr_read_b32 v2, a38
	;; [unrolled: 1-line block ×4, first 2 shown]
	ds_write2_b64 v30, v[2:3], v[0:1] offset0:8 offset1:9
	v_accvgpr_read_b32 v0, a32
	v_accvgpr_read_b32 v2, a34
	;; [unrolled: 1-line block ×4, first 2 shown]
	ds_write2_b64 v30, v[2:3], v[0:1] offset0:10 offset1:11
	ds_write_b64 v30, a[30:31] offset:96
.LBB0_7:
	s_or_b64 exec, exec, s[30:31]
	v_accvgpr_read_b32 v138, a0
	v_lshlrev_b32_e32 v0, 4, v138
	s_waitcnt lgkmcnt(0)
	; wave barrier
	s_waitcnt lgkmcnt(0)
	global_load_dwordx4 v[8:11], v0, s[0:1]
	s_movk_i32 s9, 0x4f
	v_add_u16_e32 v0, 0x4e, v138
	v_mul_lo_u16_sdwa v1, v0, s9 dst_sel:DWORD dst_unused:UNUSED_PAD src0_sel:BYTE_0 src1_sel:DWORD
	v_lshrrev_b16_e32 v1, 10, v1
	v_mul_lo_u16_e32 v1, 13, v1
	v_sub_u16_e32 v2, v0, v1
	v_lshlrev_b16_e32 v0, 1, v2
	v_and_b32_e32 v0, 0xfe, v0
	v_lshlrev_b32_e32 v0, 3, v0
	global_load_dwordx4 v[36:39], v0, s[0:1]
	v_add_u16_e32 v0, 0x41, v138
	v_mul_lo_u16_sdwa v1, v0, s9 dst_sel:DWORD dst_unused:UNUSED_PAD src0_sel:BYTE_0 src1_sel:DWORD
	v_lshrrev_b16_e32 v1, 10, v1
	v_mul_lo_u16_e32 v1, 13, v1
	v_sub_u16_e32 v3, v0, v1
	v_lshlrev_b16_e32 v0, 1, v3
	v_and_b32_e32 v0, 0xfe, v0
	v_lshlrev_b32_e32 v0, 3, v0
	global_load_dwordx4 v[28:31], v0, s[0:1]
	v_add_u16_e32 v1, 52, v138
	v_add_u16_e32 v0, 39, v138
	v_mul_lo_u16_sdwa v5, v1, s9 dst_sel:DWORD dst_unused:UNUSED_PAD src0_sel:BYTE_0 src1_sel:DWORD
	v_mul_lo_u16_sdwa v4, v0, s9 dst_sel:DWORD dst_unused:UNUSED_PAD src0_sel:BYTE_0 src1_sel:DWORD
	v_lshrrev_b16_e32 v5, 10, v5
	v_lshrrev_b16_e32 v4, 10, v4
	v_mul_lo_u16_e32 v5, 13, v5
	v_mul_lo_u16_e32 v4, 13, v4
	v_sub_u16_e32 v41, v1, v5
	v_sub_u16_e32 v40, v0, v4
	v_lshlrev_b16_e32 v0, 1, v41
	v_and_b32_e32 v0, 0xfe, v0
	v_lshlrev_b32_e32 v0, 3, v0
	global_load_dwordx4 v[20:23], v0, s[0:1]
	v_lshlrev_b16_e32 v0, 1, v40
	v_and_b32_e32 v0, 0xfe, v0
	v_lshlrev_b32_e32 v0, 3, v0
	global_load_dwordx4 v[16:19], v0, s[0:1]
	v_add_u16_e32 v42, 26, v138
	v_mul_lo_u16_sdwa v43, v42, s9 dst_sel:DWORD dst_unused:UNUSED_PAD src0_sel:BYTE_0 src1_sel:DWORD
	v_lshrrev_b16_e32 v43, 10, v43
	v_mul_lo_u16_e32 v43, 13, v43
	v_sub_u16_e32 v42, v42, v43
	v_lshlrev_b16_e32 v43, 1, v42
	v_and_b32_e32 v2, 0xff, v2
	v_and_b32_e32 v43, 0xfe, v43
	;; [unrolled: 1-line block ×5, first 2 shown]
	v_lshl_add_u32 v92, v2, 3, v66
	v_lshlrev_b32_e32 v2, 3, v43
	ds_read2_b64 v[4:7], v127 offset1:13
	ds_read2_b64 v[12:15], v127 offset0:78 offset1:91
	ds_read2_b64 v[24:27], v127 offset0:182 offset1:195
	;; [unrolled: 1-line block ×3, first 2 shown]
	ds_read_b64 v[0:1], v127 offset:2080
	v_lshl_add_u32 v96, v42, 3, v66
	v_lshl_add_u32 v95, v40, 3, v66
	;; [unrolled: 1-line block ×3, first 2 shown]
	global_load_dwordx4 v[40:43], v2, s[0:1]
	v_and_b32_e32 v3, 0xff, v3
	v_lshl_add_u32 v93, v3, 3, v66
	s_mov_b32 s8, 0x3f5db3d7
	v_accvgpr_write_b32 a43, v95
	v_accvgpr_write_b32 a42, v94
	;; [unrolled: 1-line block ×5, first 2 shown]
	s_mov_b32 s20, 0x3d64c772
	s_mov_b32 s14, 0x3eae86e6
	;; [unrolled: 1-line block ×10, first 2 shown]
	s_waitcnt vmcnt(5) lgkmcnt(3)
	v_pk_mul_f32 v[2:3], v[14:15], v[8:9] op_sel:[0,1]
	v_mov_b32_e32 v56, v11
	v_pk_fma_f32 v[44:45], v[14:15], v[8:9], v[2:3] op_sel:[0,0,1] op_sel_hi:[1,1,0] neg_lo:[0,0,1] neg_hi:[0,0,1]
	v_pk_fma_f32 v[2:3], v[14:15], v[8:9], v[2:3] op_sel:[0,0,1] op_sel_hi:[1,0,0]
	s_waitcnt lgkmcnt(2)
	v_pk_mul_f32 v[14:15], v[24:25], v[56:57] op_sel_hi:[1,0]
	v_mov_b32_e32 v45, v3
	v_pk_fma_f32 v[2:3], v[24:25], v[10:11], v[14:15] op_sel:[0,0,1] op_sel_hi:[1,1,0] neg_lo:[0,0,1] neg_hi:[0,0,1]
	v_pk_fma_f32 v[14:15], v[24:25], v[10:11], v[14:15] op_sel:[0,0,1] op_sel_hi:[1,0,0]
	s_nop 0
	v_mov_b32_e32 v3, v15
	v_pk_add_f32 v[14:15], v[4:5], v[44:45]
	v_pk_add_f32 v[24:25], v[44:45], v[2:3]
	v_pk_add_f32 v[44:45], v[44:45], v[2:3] neg_lo:[0,1] neg_hi:[0,1]
	v_pk_add_f32 v[2:3], v[14:15], v[2:3]
	v_pk_fma_f32 v[4:5], v[24:25], 0.5, v[4:5] op_sel_hi:[1,0,1] neg_lo:[1,0,0] neg_hi:[1,0,0]
	v_pk_mul_f32 v[14:15], v[44:45], s[8:9] op_sel_hi:[1,0]
	s_waitcnt vmcnt(4)
	v_mov_b32_e32 v44, v39
	v_pk_add_f32 v[24:25], v[4:5], v[14:15] op_sel:[0,1] op_sel_hi:[1,0]
	v_pk_add_f32 v[4:5], v[4:5], v[14:15] op_sel:[0,1] op_sel_hi:[1,0] neg_lo:[0,1] neg_hi:[0,1]
	s_waitcnt lgkmcnt(1)
	v_pk_mul_f32 v[14:15], v[34:35], v[36:37] op_sel:[0,1]
	s_nop 0
	v_pk_fma_f32 v[58:59], v[34:35], v[36:37], v[14:15] op_sel:[0,0,1] op_sel_hi:[1,1,0] neg_lo:[0,0,1] neg_hi:[0,0,1]
	v_pk_fma_f32 v[14:15], v[34:35], v[36:37], v[14:15] op_sel:[0,0,1] op_sel_hi:[1,0,0]
	s_waitcnt lgkmcnt(0)
	v_pk_mul_f32 v[34:35], v[0:1], v[44:45] op_sel_hi:[1,0]
	v_mov_b32_e32 v59, v15
	v_pk_fma_f32 v[14:15], v[0:1], v[38:39], v[34:35] op_sel:[0,0,1] op_sel_hi:[1,1,0] neg_lo:[0,0,1] neg_hi:[0,0,1]
	v_pk_fma_f32 v[0:1], v[0:1], v[38:39], v[34:35] op_sel:[0,0,1] op_sel_hi:[1,0,0]
	ds_read2_b64 v[44:47], v127 offset0:52 offset1:65
	ds_read2_b64 v[48:51], v127 offset0:234 offset1:247
	v_mov_b32_e32 v15, v1
	v_pk_add_f32 v[0:1], v[58:59], v[14:15]
	v_pk_add_f32 v[34:35], v[58:59], v[14:15] neg_lo:[0,1] neg_hi:[0,1]
	v_pk_fma_f32 v[0:1], v[0:1], 0.5, v[12:13] op_sel_hi:[1,0,1] neg_lo:[1,0,0] neg_hi:[1,0,0]
	v_pk_mul_f32 v[34:35], v[34:35], s[8:9] op_sel_hi:[1,0]
	s_nop 0
	v_pk_add_f32 v[60:61], v[0:1], v[34:35] op_sel:[0,1] op_sel_hi:[1,0]
	v_pk_add_f32 v[0:1], v[0:1], v[34:35] op_sel:[0,1] op_sel_hi:[1,0] neg_lo:[0,1] neg_hi:[0,1]
	s_waitcnt vmcnt(3)
	v_pk_mul_f32 v[34:35], v[32:33], v[28:29] op_sel:[0,1]
	s_nop 0
	v_pk_fma_f32 v[62:63], v[32:33], v[28:29], v[34:35] op_sel:[0,0,1] op_sel_hi:[1,1,0] neg_lo:[0,0,1] neg_hi:[0,0,1]
	v_pk_fma_f32 v[32:33], v[32:33], v[28:29], v[34:35] op_sel:[0,0,1] op_sel_hi:[1,0,0]
	s_nop 0
	v_mov_b32_e32 v32, v31
	v_mov_b32_e32 v63, v33
	s_waitcnt lgkmcnt(0)
	v_pk_mul_f32 v[32:33], v[50:51], v[32:33] op_sel_hi:[1,0]
	s_nop 0
	v_pk_fma_f32 v[64:65], v[50:51], v[30:31], v[32:33] op_sel:[0,0,1] op_sel_hi:[1,1,0] neg_lo:[0,0,1] neg_hi:[0,0,1]
	v_pk_fma_f32 v[32:33], v[50:51], v[30:31], v[32:33] op_sel:[0,0,1] op_sel_hi:[1,0,0]
	s_nop 0
	v_mov_b32_e32 v65, v33
	v_pk_add_f32 v[32:33], v[62:63], v[64:65]
	v_pk_add_f32 v[52:53], v[62:63], v[64:65] neg_lo:[0,1] neg_hi:[0,1]
	v_pk_fma_f32 v[50:51], v[32:33], 0.5, v[46:47] op_sel_hi:[1,0,1] neg_lo:[1,0,0] neg_hi:[1,0,0]
	ds_read2_b64 v[32:35], v127 offset0:130 offset1:143
	v_pk_mul_f32 v[52:53], v[52:53], s[8:9] op_sel_hi:[1,0]
	s_nop 0
	v_pk_add_f32 v[66:67], v[50:51], v[52:53] op_sel:[0,1] op_sel_hi:[1,0] neg_lo:[0,1] neg_hi:[0,1]
	v_pk_add_f32 v[68:69], v[50:51], v[52:53] op_sel:[0,1] op_sel_hi:[1,0]
	s_waitcnt vmcnt(2) lgkmcnt(0)
	v_pk_mul_f32 v[50:51], v[34:35], v[20:21] op_sel:[0,1]
	s_nop 0
	v_pk_fma_f32 v[70:71], v[34:35], v[20:21], v[50:51] op_sel:[0,0,1] op_sel_hi:[1,1,0] neg_lo:[0,0,1] neg_hi:[0,0,1]
	v_pk_fma_f32 v[34:35], v[34:35], v[20:21], v[50:51] op_sel:[0,0,1] op_sel_hi:[1,0,0]
	s_nop 0
	v_mov_b32_e32 v34, v23
	v_mov_b32_e32 v71, v35
	v_pk_mul_f32 v[34:35], v[48:49], v[34:35] op_sel_hi:[1,0]
	s_nop 0
	v_pk_fma_f32 v[72:73], v[48:49], v[22:23], v[34:35] op_sel:[0,0,1] op_sel_hi:[1,1,0] neg_lo:[0,0,1] neg_hi:[0,0,1]
	v_pk_fma_f32 v[34:35], v[48:49], v[22:23], v[34:35] op_sel:[0,0,1] op_sel_hi:[1,0,0]
	s_nop 0
	v_mov_b32_e32 v73, v35
	v_pk_add_f32 v[34:35], v[70:71], v[72:73]
	v_pk_add_f32 v[48:49], v[70:71], v[72:73] neg_lo:[0,1] neg_hi:[0,1]
	v_pk_fma_f32 v[34:35], v[34:35], 0.5, v[44:45] op_sel_hi:[1,0,1] neg_lo:[1,0,0] neg_hi:[1,0,0]
	v_pk_mul_f32 v[48:49], v[48:49], s[8:9] op_sel_hi:[1,0]
	s_nop 0
	v_pk_add_f32 v[74:75], v[34:35], v[48:49] op_sel:[0,1] op_sel_hi:[1,0] neg_lo:[0,1] neg_hi:[0,1]
	v_pk_add_f32 v[76:77], v[34:35], v[48:49] op_sel:[0,1] op_sel_hi:[1,0]
	ds_read2_b64 v[48:51], v127 offset0:26 offset1:39
	ds_read2_b64 v[52:55], v127 offset0:208 offset1:221
	s_waitcnt vmcnt(1)
	v_pk_mul_f32 v[34:35], v[32:33], v[16:17] op_sel:[0,1]
	s_nop 0
	v_pk_fma_f32 v[78:79], v[32:33], v[16:17], v[34:35] op_sel:[0,0,1] op_sel_hi:[1,1,0] neg_lo:[0,0,1] neg_hi:[0,0,1]
	v_pk_fma_f32 v[32:33], v[32:33], v[16:17], v[34:35] op_sel:[0,0,1] op_sel_hi:[1,0,0]
	s_nop 0
	v_mov_b32_e32 v32, v19
	v_mov_b32_e32 v79, v33
	s_waitcnt lgkmcnt(0)
	v_pk_mul_f32 v[32:33], v[54:55], v[32:33] op_sel_hi:[1,0]
	s_nop 0
	v_pk_fma_f32 v[80:81], v[54:55], v[18:19], v[32:33] op_sel:[0,0,1] op_sel_hi:[1,1,0] neg_lo:[0,0,1] neg_hi:[0,0,1]
	v_pk_fma_f32 v[32:33], v[54:55], v[18:19], v[32:33] op_sel:[0,0,1] op_sel_hi:[1,0,0]
	s_nop 0
	v_mov_b32_e32 v81, v33
	v_pk_add_f32 v[32:33], v[78:79], v[80:81]
	v_pk_add_f32 v[82:83], v[78:79], v[80:81] neg_lo:[0,1] neg_hi:[0,1]
	v_pk_fma_f32 v[54:55], v[32:33], 0.5, v[50:51] op_sel_hi:[1,0,1] neg_lo:[1,0,0] neg_hi:[1,0,0]
	ds_read2_b64 v[32:35], v127 offset0:104 offset1:117
	v_pk_mul_f32 v[82:83], v[82:83], s[8:9] op_sel_hi:[1,0]
	s_waitcnt lgkmcnt(0)
	v_pk_add_f32 v[84:85], v[54:55], v[82:83] op_sel:[0,1] op_sel_hi:[1,0] neg_lo:[0,1] neg_hi:[0,1]
	v_pk_add_f32 v[54:55], v[54:55], v[82:83] op_sel:[0,1] op_sel_hi:[1,0]
	s_waitcnt vmcnt(0)
	v_pk_mul_f32 v[82:83], v[34:35], v[40:41] op_sel:[0,1]
	; wave barrier
	s_nop 0
	v_pk_fma_f32 v[86:87], v[34:35], v[40:41], v[82:83] op_sel:[0,0,1] op_sel_hi:[1,1,0] neg_lo:[0,0,1] neg_hi:[0,0,1]
	v_pk_fma_f32 v[34:35], v[34:35], v[40:41], v[82:83] op_sel:[0,0,1] op_sel_hi:[1,0,0]
	s_nop 0
	v_mov_b32_e32 v34, v43
	v_mov_b32_e32 v87, v35
	v_pk_mul_f32 v[34:35], v[52:53], v[34:35] op_sel_hi:[1,0]
	s_nop 0
	v_pk_fma_f32 v[82:83], v[52:53], v[42:43], v[34:35] op_sel:[0,0,1] op_sel_hi:[1,1,0] neg_lo:[0,0,1] neg_hi:[0,0,1]
	v_pk_fma_f32 v[34:35], v[52:53], v[42:43], v[34:35] op_sel:[0,0,1] op_sel_hi:[1,0,0]
	s_nop 0
	v_mov_b32_e32 v83, v35
	v_pk_add_f32 v[34:35], v[86:87], v[82:83]
	v_pk_add_f32 v[52:53], v[86:87], v[82:83] neg_lo:[0,1] neg_hi:[0,1]
	v_pk_fma_f32 v[34:35], v[34:35], 0.5, v[48:49] op_sel_hi:[1,0,1] neg_lo:[1,0,0] neg_hi:[1,0,0]
	v_pk_mul_f32 v[52:53], v[52:53], s[8:9] op_sel_hi:[1,0]
	s_nop 0
	v_pk_add_f32 v[88:89], v[34:35], v[52:53] op_sel:[0,1] op_sel_hi:[1,0] neg_lo:[0,1] neg_hi:[0,1]
	v_pk_add_f32 v[34:35], v[34:35], v[52:53] op_sel:[0,1] op_sel_hi:[1,0]
	v_pk_mul_f32 v[52:53], v[32:33], v[8:9] op_sel:[0,1]
	s_nop 0
	v_pk_fma_f32 v[90:91], v[32:33], v[8:9], v[52:53] op_sel:[0,0,1] op_sel_hi:[1,1,0] neg_lo:[0,0,1] neg_hi:[0,0,1]
	v_pk_fma_f32 v[32:33], v[32:33], v[8:9], v[52:53] op_sel:[0,0,1] op_sel_hi:[1,0,0]
	s_nop 0
	v_mov_b32_e32 v91, v33
	v_pk_mul_f32 v[32:33], v[26:27], v[56:57] op_sel_hi:[1,0]
	s_nop 0
	v_pk_fma_f32 v[52:53], v[26:27], v[10:11], v[32:33] op_sel:[0,0,1] op_sel_hi:[1,1,0] neg_lo:[0,0,1] neg_hi:[0,0,1]
	v_pk_fma_f32 v[26:27], v[26:27], v[10:11], v[32:33] op_sel:[0,0,1] op_sel_hi:[1,0,0]
	s_nop 0
	v_mov_b32_e32 v53, v27
	v_pk_add_f32 v[26:27], v[90:91], v[52:53]
	v_pk_add_f32 v[32:33], v[90:91], v[52:53] neg_lo:[0,1] neg_hi:[0,1]
	v_pk_fma_f32 v[26:27], v[26:27], 0.5, v[6:7] op_sel_hi:[1,0,1] neg_lo:[1,0,0] neg_hi:[1,0,0]
	v_pk_mul_f32 v[32:33], v[32:33], s[8:9] op_sel_hi:[1,0]
	s_mov_b32 s8, 0x3ee1c552
	v_pk_add_f32 v[56:57], v[26:27], v[32:33] op_sel:[0,1] op_sel_hi:[1,0] neg_lo:[0,1] neg_hi:[0,1]
	v_pk_add_f32 v[26:27], v[26:27], v[32:33] op_sel:[0,1] op_sel_hi:[1,0]
	v_mov_b32_e32 v32, v24
	v_mov_b32_e32 v33, v5
	ds_write2_b64 v127, v[2:3], v[32:33] offset1:13
	v_pk_add_f32 v[2:3], v[6:7], v[90:91]
	v_mov_b32_e32 v5, v25
	v_pk_add_f32 v[2:3], v[2:3], v[52:53]
	ds_write2_b64 v127, v[4:5], v[2:3] offset0:26 offset1:39
	v_mov_b32_e32 v2, v26
	v_mov_b32_e32 v3, v57
	;; [unrolled: 1-line block ×3, first 2 shown]
	ds_write2_b64 v127, v[2:3], v[56:57] offset0:52 offset1:65
	v_pk_add_f32 v[2:3], v[48:49], v[86:87]
	v_mov_b32_e32 v4, v34
	v_pk_add_f32 v[2:3], v[2:3], v[82:83]
	v_mov_b32_e32 v5, v89
	ds_write2_b64 v96, v[2:3], v[4:5] offset0:78 offset1:91
	v_pk_add_f32 v[2:3], v[50:51], v[78:79]
	v_mov_b32_e32 v4, v54
	v_pk_add_f32 v[2:3], v[2:3], v[80:81]
	v_mov_b32_e32 v5, v85
	;; [unrolled: 5-line block ×4, first 2 shown]
	ds_write2_b64 v93, v[2:3], v[4:5] offset0:195 offset1:208
	v_pk_add_f32 v[2:3], v[12:13], v[58:59]
	v_mov_b32_e32 v5, v1
	v_mov_b32_e32 v1, v61
	;; [unrolled: 1-line block ×6, first 2 shown]
	v_pk_add_f32 v[2:3], v[2:3], v[14:15]
	v_mov_b32_e32 v4, v60
	ds_write_b64 v92, v[0:1] offset:2080
	v_mad_u64_u32 v[0:1], s[0:1], v138, 48, s[0:1]
	ds_write_b64 v96, v[88:89] offset:832
	ds_write_b64 v95, v[84:85] offset:1144
	;; [unrolled: 1-line block ×4, first 2 shown]
	ds_write2_b64 v92, v[2:3], v[4:5] offset0:234 offset1:247
	s_waitcnt lgkmcnt(0)
	; wave barrier
	s_waitcnt lgkmcnt(0)
	global_load_dwordx4 v[48:51], v[0:1], off offset:208
	global_load_dwordx4 v[44:47], v[0:1], off offset:240
	;; [unrolled: 1-line block ×6, first 2 shown]
	ds_read2_b64 v[144:147], v127 offset0:26 offset1:39
	ds_read2_b64 v[92:95], v127 offset0:78 offset1:91
	;; [unrolled: 1-line block ×6, first 2 shown]
	ds_read2_b64 v[80:83], v127 offset1:13
	global_load_dwordx4 v[32:35], v[0:1], off offset:832
	global_load_dwordx4 v[24:27], v[0:1], off offset:864
	;; [unrolled: 1-line block ×3, first 2 shown]
	ds_read2_b64 v[96:99], v127 offset0:52 offset1:65
	ds_read2_b64 v[70:73], v127 offset0:208 offset1:221
	ds_read_b64 v[0:1], v127 offset:2080
	s_mov_b32 s0, 0x3f5ff5aa
	s_waitcnt lgkmcnt(7)
	v_mov_b32_e32 v124, v151
	v_mov_b32_e32 v125, v92
	s_waitcnt lgkmcnt(6)
	v_mov_b32_e32 v128, v85
	s_waitcnt lgkmcnt(5)
	v_mov_b32_e32 v129, v154
	s_waitcnt vmcnt(8)
	v_mul_f32_e32 v3, v93, v51
	v_fma_f32 v105, v92, v50, -v3
	s_waitcnt vmcnt(6) lgkmcnt(2)
	v_pk_mul_f32 v[64:65], v[98:99], v[12:13] op_sel_hi:[1,0]
	v_mov_b32_e32 v68, v15
	v_pk_fma_f32 v[66:67], v[98:99], v[12:13], v[64:65] op_sel:[0,1,1] op_sel_hi:[1,1,0]
	v_pk_fma_f32 v[64:65], v[98:99], v[12:13], v[64:65] op_sel:[0,1,1] op_sel_hi:[1,1,0] neg_lo:[1,0,0] neg_hi:[1,0,0]
	ds_read2_b64 v[98:101], v127 offset0:130 offset1:143
	v_mov_b32_e32 v67, v65
	v_pk_mul_f32 v[64:65], v[148:149], v[14:15] op_sel_hi:[1,0]
	s_waitcnt vmcnt(3)
	v_mov_b32_e32 v92, v57
	v_pk_fma_f32 v[74:75], v[148:149], v[68:69], v[64:65] op_sel:[0,0,1] op_sel_hi:[1,0,0]
	v_pk_fma_f32 v[64:65], v[148:149], v[68:69], v[64:65] op_sel:[0,0,1] op_sel_hi:[1,0,0] neg_lo:[1,0,0] neg_hi:[1,0,0]
	v_mov_b32_e32 v130, v59
	v_mov_b32_e32 v75, v65
	s_waitcnt lgkmcnt(2)
	v_pk_mul_f32 v[64:65], v[72:73], v[4:5] op_sel_hi:[1,0]
	v_mov_b32_e32 v131, v45
	v_pk_fma_f32 v[68:69], v[72:73], v[4:5], v[64:65] op_sel:[0,1,1] op_sel_hi:[1,1,0]
	v_pk_fma_f32 v[64:65], v[72:73], v[4:5], v[64:65] op_sel:[0,1,1] op_sel_hi:[1,1,0] neg_lo:[1,0,0] neg_hi:[1,0,0]
	v_mov_b32_e32 v72, v7
	v_mov_b32_e32 v69, v65
	s_waitcnt lgkmcnt(1)
	v_pk_mul_f32 v[64:65], v[0:1], v[6:7] op_sel_hi:[1,0]
	v_mul_f32_e32 v110, v88, v47
	v_pk_fma_f32 v[76:77], v[0:1], v[72:73], v[64:65] op_sel:[0,0,1] op_sel_hi:[1,0,0]
	v_pk_fma_f32 v[0:1], v[0:1], v[72:73], v[64:65] op_sel:[0,0,1] op_sel_hi:[1,0,0] neg_lo:[1,0,0] neg_hi:[1,0,0]
	v_pk_add_f32 v[64:65], v[74:75], v[68:69] neg_lo:[0,1] neg_hi:[0,1]
	v_mov_b32_e32 v77, v1
	v_pk_add_f32 v[0:1], v[66:67], v[76:77] neg_lo:[0,1] neg_hi:[0,1]
	v_pk_add_f32 v[66:67], v[66:67], v[76:77]
	s_waitcnt lgkmcnt(0)
	v_pk_mul_f32 v[76:77], v[100:101], v[52:53] op_sel_hi:[1,0]
	v_mov_b32_e32 v118, v64
	v_pk_fma_f32 v[78:79], v[100:101], v[52:53], v[76:77] op_sel:[0,0,1] op_sel_hi:[1,1,0] neg_lo:[1,0,0] neg_hi:[1,0,0]
	v_pk_fma_f32 v[76:77], v[100:101], v[52:53], v[76:77] op_sel:[0,1,1] op_sel_hi:[1,1,0]
	v_mov_b32_e32 v100, v55
	v_mov_b32_e32 v77, v79
	v_pk_mul_f32 v[78:79], v[152:153], v[54:55] op_sel_hi:[1,0]
	v_pk_add_f32 v[68:69], v[74:75], v[68:69]
	v_pk_fma_f32 v[116:117], v[152:153], v[54:55], v[78:79] op_sel:[0,0,1] op_sel_hi:[1,1,0] neg_lo:[1,0,0] neg_hi:[1,0,0]
	v_pk_fma_f32 v[78:79], v[152:153], v[100:101], v[78:79] op_sel:[0,0,1] op_sel_hi:[1,0,0]
	v_mov_b32_e32 v120, v69
	v_mov_b32_e32 v79, v117
	v_pk_add_f32 v[100:101], v[76:77], v[78:79]
	v_pk_add_f32 v[76:77], v[78:79], v[76:77] neg_lo:[0,1] neg_hi:[0,1]
	v_mov_b32_e32 v117, v1
	v_mov_b32_e32 v116, v76
	;; [unrolled: 1-line block ×3, first 2 shown]
	v_pk_add_f32 v[78:79], v[76:77], v[64:65]
	v_pk_add_f32 v[116:117], v[116:117], v[118:119] neg_lo:[0,1] neg_hi:[0,1]
	v_mov_b32_e32 v118, v0
	v_mov_b32_e32 v77, v65
	v_pk_add_f32 v[76:77], v[118:119], v[76:77] neg_lo:[0,1] neg_hi:[0,1]
	v_mov_b32_e32 v118, v101
	v_mov_b32_e32 v119, v66
	;; [unrolled: 1-line block ×3, first 2 shown]
	v_pk_add_f32 v[72:73], v[64:65], v[0:1] neg_lo:[0,1] neg_hi:[0,1]
	v_pk_add_f32 v[74:75], v[68:69], v[66:67] neg_lo:[0,1] neg_hi:[0,1]
	v_pk_add_f32 v[64:65], v[68:69], v[66:67]
	v_pk_add_f32 v[118:119], v[118:119], v[120:121] neg_lo:[0,1] neg_hi:[0,1]
	v_mov_b32_e32 v66, v67
	v_mov_b32_e32 v67, v100
	;; [unrolled: 1-line block ×4, first 2 shown]
	v_pk_add_f32 v[66:67], v[66:67], v[120:121] neg_lo:[0,1] neg_hi:[0,1]
	v_pk_add_f32 v[68:69], v[100:101], v[64:65]
	v_pk_mul_f32 v[118:119], v[118:119], s[20:21]
	v_pk_mul_f32 v[120:121], v[66:67], s[22:23]
	;; [unrolled: 1-line block ×3, first 2 shown]
	v_pk_mul_f32 v[100:101], v[74:75], s[10:11] op_sel_hi:[1,0]
	v_pk_add_f32 v[64:65], v[144:145], v[68:69] op_sel:[0,1] op_sel_hi:[1,0]
	v_mov_b32_e32 v122, v121
	v_mov_b32_e32 v123, v118
	;; [unrolled: 1-line block ×3, first 2 shown]
	v_pk_add_f32 v[0:1], v[78:79], v[0:1]
	v_pk_mul_f32 v[78:79], v[76:77], s[14:15]
	v_pk_fma_f32 v[68:69], v[68:69], s[18:19], v[64:65] op_sel:[1,0,0] op_sel_hi:[0,0,1] neg_lo:[1,0,0] neg_hi:[1,0,0]
	v_pk_fma_f32 v[66:67], v[66:67], s[22:23], v[118:119]
	v_pk_fma_f32 v[74:75], v[74:75], s[10:11], v[122:123] op_sel_hi:[1,0,1] neg_lo:[0,0,1] neg_hi:[0,0,1]
	v_pk_add_f32 v[100:101], v[120:121], v[100:101] op_sel:[0,1] op_sel_hi:[1,0] neg_lo:[1,1] neg_hi:[1,1]
	v_pk_fma_f32 v[76:77], v[76:77], s[14:15], v[116:117]
	v_mov_b32_e32 v118, v116
	v_mov_b32_e32 v119, v79
	;; [unrolled: 1-line block ×3, first 2 shown]
	v_pk_add_f32 v[66:67], v[66:67], v[68:69]
	v_pk_add_f32 v[74:75], v[74:75], v[68:69] op_sel:[1,0] op_sel_hi:[0,1]
	v_pk_add_f32 v[116:117], v[100:101], v[68:69]
	v_pk_fma_f32 v[68:69], v[0:1], s[8:9], v[76:77] op_sel_hi:[1,0,1]
	v_pk_fma_f32 v[118:119], v[72:73], s[0:1], v[118:119] op_sel_hi:[1,0,1] neg_lo:[0,0,1] neg_hi:[0,0,1]
	v_pk_fma_f32 v[72:73], v[72:73], s[0:1], v[78:79] op_sel_hi:[1,0,1] neg_lo:[1,0,1] neg_hi:[1,0,1]
	v_pk_add_f32 v[120:121], v[66:67], v[68:69]
	v_pk_add_f32 v[68:69], v[66:67], v[68:69] neg_lo:[0,1] neg_hi:[0,1]
	v_pk_fma_f32 v[76:77], v[0:1], s[8:9], v[118:119] op_sel_hi:[1,0,1]
	v_pk_fma_f32 v[118:119], v[0:1], s[8:9], v[72:73] op_sel_hi:[1,0,1]
	v_mov_b32_e32 v66, v120
	v_mov_b32_e32 v67, v69
	;; [unrolled: 1-line block ×7, first 2 shown]
	v_pk_add_f32 v[0:1], v[74:75], v[76:77]
	v_pk_add_f32 v[78:79], v[74:75], v[76:77] neg_lo:[0,1] neg_hi:[0,1]
	v_pk_add_f32 v[100:101], v[116:117], v[118:119] neg_lo:[0,1] neg_hi:[0,1]
	v_pk_add_f32 v[76:77], v[116:117], v[118:119]
	v_mov_b32_e32 v116, v146
	v_mov_b32_e32 v117, v151
	;; [unrolled: 1-line block ×4, first 2 shown]
	v_pk_mul_f32 v[120:121], v[120:121], v[122:123]
	v_pk_mul_f32 v[128:129], v[128:129], v[130:131]
	v_pk_fma_f32 v[122:123], v[116:117], v[118:119], v[120:121] neg_lo:[0,0,1] neg_hi:[0,0,1]
	v_pk_fma_f32 v[116:117], v[116:117], v[118:119], v[120:121]
	v_mov_b32_e32 v119, v93
	v_mov_b32_e32 v93, v51
	;; [unrolled: 1-line block ×5, first 2 shown]
	v_pk_mul_f32 v[92:93], v[124:125], v[92:93]
	v_fmac_f32_e32 v110, v89, v46
	v_pk_fma_f32 v[124:125], v[150:151], v[56:57], v[92:93] neg_lo:[0,0,1] neg_hi:[0,0,1]
	v_pk_fma_f32 v[92:93], v[118:119], v[120:121], v[92:93]
	v_mov_b32_e32 v118, v84
	v_mov_b32_e32 v119, v155
	;; [unrolled: 1-line block ×4, first 2 shown]
	v_pk_fma_f32 v[130:131], v[84:85], v[58:59], v[128:129] neg_lo:[0,0,1] neg_hi:[0,0,1]
	v_pk_fma_f32 v[118:119], v[118:119], v[120:121], v[128:129]
	v_mov_b32_e32 v120, v88
	v_mov_b32_e32 v121, v85
	;; [unrolled: 1-line block ×6, first 2 shown]
	v_mul_f32_e32 v3, v155, v45
	v_mov_b32_e32 v128, v46
	v_mov_b32_e32 v129, v58
	v_pk_mul_f32 v[84:85], v[88:89], v[84:85]
	v_mul_f32_e32 v2, v146, v49
	v_fma_f32 v109, v154, v44, -v3
	v_pk_fma_f32 v[88:89], v[120:121], v[128:129], v[84:85] neg_lo:[0,0,1] neg_hi:[0,0,1]
	v_pk_fma_f32 v[84:85], v[120:121], v[128:129], v[84:85]
	v_mov_b32_e32 v104, v93
	v_mov_b32_e32 v108, v119
	v_fmac_f32_e32 v2, v147, v48
	v_add_f32_e32 v114, v105, v109
	v_mov_b32_e32 v125, v93
	v_mov_b32_e32 v89, v85
	;; [unrolled: 1-line block ×4, first 2 shown]
	v_pk_add_f32 v[92:93], v[104:105], v[108:109] neg_lo:[0,1] neg_hi:[0,1]
	v_mov_b32_e32 v84, v85
	v_mov_b32_e32 v85, v130
	;; [unrolled: 1-line block ×4, first 2 shown]
	v_add_f32_e32 v113, v2, v110
	v_mov_b32_e32 v123, v117
	v_mov_b32_e32 v131, v119
	v_pk_add_f32 v[2:3], v[2:3], v[110:111] neg_lo:[0,1] neg_hi:[0,1]
	v_pk_add_f32 v[84:85], v[84:85], v[108:109] neg_lo:[0,1] neg_hi:[0,1]
	v_pk_add_f32 v[104:105], v[124:125], v[130:131]
	v_pk_add_f32 v[88:89], v[122:123], v[88:89]
	v_mov_b32_e32 v122, v84
	v_mov_b32_e32 v123, v3
	;; [unrolled: 1-line block ×6, first 2 shown]
	v_pk_add_f32 v[120:121], v[84:85], v[92:93]
	v_pk_add_f32 v[122:123], v[122:123], v[124:125] neg_lo:[0,1] neg_hi:[0,1]
	v_mov_b32_e32 v124, v2
	v_mov_b32_e32 v85, v93
	v_add_f32_e32 v108, v114, v88
	v_add_f32_e32 v111, v105, v113
	v_pk_add_f32 v[116:117], v[112:113], v[114:115] neg_lo:[0,1] neg_hi:[0,1]
	v_pk_add_f32 v[118:119], v[88:89], v[104:105] neg_lo:[0,1] neg_hi:[0,1]
	;; [unrolled: 1-line block ×3, first 2 shown]
	v_mov_b32_e32 v109, v89
	v_mov_b32_e32 v110, v104
	v_pk_add_f32 v[108:109], v[108:109], v[110:111]
	v_pk_add_f32 v[110:111], v[120:121], v[2:3]
	v_pk_mul_f32 v[116:117], v[116:117], s[20:21]
	v_pk_mul_f32 v[120:121], v[118:119], s[22:23]
	;; [unrolled: 1-line block ×4, first 2 shown]
	v_mov_b32_e32 v115, v105
	v_mov_b32_e32 v89, v113
	v_pk_add_f32 v[80:81], v[80:81], v[108:109]
	v_pk_add_f32 v[88:89], v[114:115], v[88:89] neg_lo:[0,1] neg_hi:[0,1]
	v_pk_add_f32 v[2:3], v[92:93], v[2:3] neg_lo:[0,1] neg_hi:[0,1]
	v_mov_b32_e32 v92, v120
	v_mov_b32_e32 v93, v117
	;; [unrolled: 1-line block ×4, first 2 shown]
	v_pk_fma_f32 v[108:109], v[108:109], s[18:19], v[80:81] op_sel_hi:[1,0,1] neg_lo:[1,0,0] neg_hi:[1,0,0]
	v_pk_fma_f32 v[92:93], v[88:89], s[10:11], v[92:93] op_sel_hi:[1,0,1] neg_lo:[1,0,1] neg_hi:[1,0,1]
	;; [unrolled: 1-line block ×3, first 2 shown]
	v_pk_add_f32 v[92:93], v[92:93], v[108:109]
	v_pk_fma_f32 v[104:105], v[110:111], s[8:9], v[104:105] op_sel_hi:[1,0,1]
	v_mov_b32_e32 v72, v0
	v_pk_add_f32 v[112:113], v[92:93], v[104:105]
	v_pk_add_f32 v[92:93], v[92:93], v[104:105] neg_lo:[0,1] neg_hi:[0,1]
	s_waitcnt vmcnt(2)
	v_pk_mul_f32 v[104:105], v[96:97], v[32:33] op_sel:[0,1]
	v_mov_b32_e32 v0, v35
	v_pk_fma_f32 v[114:115], v[96:97], v[32:33], v[104:105] op_sel:[0,0,1] op_sel_hi:[1,1,0] neg_lo:[0,0,1] neg_hi:[0,0,1]
	v_pk_fma_f32 v[96:97], v[96:97], v[32:33], v[104:105] op_sel:[0,0,1] op_sel_hi:[1,0,0]
	v_pk_fma_f32 v[118:119], v[118:119], s[22:23], v[116:117]
	v_mov_b32_e32 v115, v97
	v_pk_mul_f32 v[96:97], v[94:95], v[0:1] op_sel_hi:[1,0]
	v_pk_fma_f32 v[84:85], v[84:85], s[14:15], v[122:123]
	v_pk_fma_f32 v[104:105], v[94:95], v[34:35], v[96:97] op_sel:[0,0,1] op_sel_hi:[1,1,0] neg_lo:[0,0,1] neg_hi:[0,0,1]
	v_pk_fma_f32 v[94:95], v[94:95], v[34:35], v[96:97] op_sel:[0,0,1] op_sel_hi:[1,0,0]
	v_pk_add_f32 v[118:119], v[118:119], v[108:109]
	v_pk_fma_f32 v[84:85], v[110:111], s[8:9], v[84:85] op_sel_hi:[1,0,1]
	v_mov_b32_e32 v105, v95
	s_waitcnt vmcnt(1)
	v_pk_mul_f32 v[94:95], v[70:71], v[24:25] op_sel:[0,1]
	v_pk_add_f32 v[128:129], v[118:119], v[84:85]
	v_pk_add_f32 v[84:85], v[118:119], v[84:85] neg_lo:[0,1] neg_hi:[0,1]
	v_pk_fma_f32 v[96:97], v[70:71], v[24:25], v[94:95] op_sel:[0,0,1] op_sel_hi:[1,1,0] neg_lo:[0,0,1] neg_hi:[0,0,1]
	v_pk_fma_f32 v[70:71], v[70:71], v[24:25], v[94:95] op_sel:[0,0,1] op_sel_hi:[1,0,0]
	v_mov_b32_e32 v0, v27
	s_waitcnt vmcnt(0)
	v_pk_mul_f32 v[118:119], v[98:99], v[60:61] op_sel:[0,1]
	v_mov_b32_e32 v97, v71
	v_pk_mul_f32 v[70:71], v[90:91], v[0:1] op_sel_hi:[1,0]
	v_pk_fma_f32 v[130:131], v[98:99], v[60:61], v[118:119] op_sel:[0,0,1] op_sel_hi:[1,1,0] neg_lo:[0,0,1] neg_hi:[0,0,1]
	v_pk_fma_f32 v[98:99], v[98:99], v[60:61], v[118:119] op_sel:[0,0,1] op_sel_hi:[1,0,0]
	v_mov_b32_e32 v0, v63
	v_mov_b32_e32 v131, v99
	v_pk_mul_f32 v[98:99], v[86:87], v[0:1] op_sel_hi:[1,0]
	v_pk_fma_f32 v[94:95], v[90:91], v[26:27], v[70:71] op_sel:[0,0,1] op_sel_hi:[1,1,0] neg_lo:[0,0,1] neg_hi:[0,0,1]
	v_pk_fma_f32 v[70:71], v[90:91], v[26:27], v[70:71] op_sel:[0,0,1] op_sel_hi:[1,0,0]
	v_pk_fma_f32 v[118:119], v[86:87], v[62:63], v[98:99] op_sel:[0,0,1] op_sel_hi:[1,1,0] neg_lo:[0,0,1] neg_hi:[0,0,1]
	v_pk_fma_f32 v[86:87], v[86:87], v[62:63], v[98:99] op_sel:[0,0,1] op_sel_hi:[1,0,0]
	v_mov_b32_e32 v95, v71
	v_mov_b32_e32 v119, v87
	v_pk_add_f32 v[70:71], v[114:115], v[94:95]
	v_pk_add_f32 v[90:91], v[114:115], v[94:95] neg_lo:[0,1] neg_hi:[0,1]
	v_pk_add_f32 v[94:95], v[104:105], v[96:97]
	v_pk_add_f32 v[86:87], v[130:131], v[118:119]
	v_pk_add_f32 v[96:97], v[104:105], v[96:97] neg_lo:[0,1] neg_hi:[0,1]
	v_pk_add_f32 v[104:105], v[94:95], v[70:71] neg_lo:[0,1] neg_hi:[0,1]
	v_pk_add_f32 v[98:99], v[94:95], v[70:71]
	v_mov_b32_e32 v133, v71
	v_mov_b32_e32 v134, v94
	;; [unrolled: 1-line block ×6, first 2 shown]
	v_pk_add_f32 v[70:71], v[70:71], v[94:95] neg_lo:[0,1] neg_hi:[0,1]
	v_pk_add_f32 v[94:95], v[118:119], v[130:131] neg_lo:[0,1] neg_hi:[0,1]
	;; [unrolled: 1-line block ×3, first 2 shown]
	v_mov_b32_e32 v130, v95
	v_mov_b32_e32 v131, v90
	;; [unrolled: 1-line block ×4, first 2 shown]
	v_pk_add_f32 v[118:119], v[94:95], v[96:97] op_sel:[1,1] op_sel_hi:[0,0]
	v_pk_add_f32 v[130:131], v[130:131], v[134:135] neg_lo:[0,1] neg_hi:[0,1]
	v_mov_b32_e32 v134, v91
	v_mov_b32_e32 v94, v95
	;; [unrolled: 1-line block ×3, first 2 shown]
	v_pk_add_f32 v[94:95], v[134:135], v[94:95] neg_lo:[0,1] neg_hi:[0,1]
	v_pk_add_f32 v[114:115], v[96:97], v[90:91] op_sel:[1,1] op_sel_hi:[0,0] neg_lo:[0,1] neg_hi:[0,1]
	v_pk_add_f32 v[86:87], v[86:87], v[98:99]
	v_pk_add_f32 v[90:91], v[118:119], v[90:91] op_sel:[0,1] op_sel_hi:[1,0]
	v_pk_mul_f32 v[96:97], v[132:133], s[20:21]
	v_pk_mul_f32 v[98:99], v[70:71], s[22:23]
	;; [unrolled: 1-line block ×4, first 2 shown]
	v_pk_add_f32 v[82:83], v[82:83], v[86:87]
	v_mov_b32_e32 v132, v98
	v_mov_b32_e32 v133, v97
	;; [unrolled: 1-line block ×4, first 2 shown]
	v_pk_fma_f32 v[86:87], v[86:87], s[18:19], v[82:83] op_sel_hi:[1,0,1] neg_lo:[1,0,0] neg_hi:[1,0,0]
	v_pk_fma_f32 v[70:71], v[70:71], s[22:23], v[96:97]
	v_pk_fma_f32 v[132:133], v[104:105], s[10:11], v[132:133] op_sel_hi:[1,0,1] neg_lo:[1,0,1] neg_hi:[1,0,1]
	v_pk_fma_f32 v[94:95], v[94:95], s[14:15], v[130:131]
	v_pk_fma_f32 v[134:135], v[114:115], s[0:1], v[134:135] op_sel_hi:[1,0,1] neg_lo:[1,0,1] neg_hi:[1,0,1]
	v_pk_add_f32 v[70:71], v[70:71], v[86:87]
	v_pk_add_f32 v[132:133], v[132:133], v[86:87]
	v_pk_fma_f32 v[94:95], v[90:91], s[8:9], v[94:95] op_sel_hi:[1,0,1]
	v_pk_fma_f32 v[134:135], v[90:91], s[8:9], v[134:135] op_sel_hi:[1,0,1]
	v_mov_b32_e32 v117, v121
	v_mov_b32_e32 v123, v125
	v_pk_add_f32 v[136:137], v[132:133], v[134:135]
	v_pk_add_f32 v[132:133], v[132:133], v[134:135] neg_lo:[0,1] neg_hi:[0,1]
	v_pk_add_f32 v[134:135], v[70:71], v[94:95] neg_lo:[0,1] neg_hi:[0,1]
	v_pk_add_f32 v[70:71], v[70:71], v[94:95]
	v_mov_b32_e32 v94, v128
	v_mov_b32_e32 v95, v85
	v_pk_fma_f32 v[88:89], v[88:89], s[10:11], v[116:117] op_sel_hi:[1,0,1] neg_lo:[0,0,1] neg_hi:[0,0,1]
	v_pk_fma_f32 v[2:3], v[2:3], s[0:1], v[122:123] op_sel_hi:[1,0,1] neg_lo:[0,0,1] neg_hi:[0,0,1]
	ds_write_b64 v127, v[94:95] offset:312
	v_mov_b32_e32 v94, v112
	v_mov_b32_e32 v95, v93
	v_pk_add_f32 v[88:89], v[88:89], v[108:109]
	v_pk_fma_f32 v[2:3], v[110:111], s[8:9], v[2:3] op_sel_hi:[1,0,1]
	ds_write_b64 v127, v[94:95] offset:624
	v_pk_add_f32 v[94:95], v[88:89], v[2:3] neg_lo:[0,1] neg_hi:[0,1]
	v_pk_add_f32 v[2:3], v[88:89], v[2:3]
	v_mov_b32_e32 v145, v71
	v_mov_b32_e32 v89, v3
	;; [unrolled: 1-line block ×4, first 2 shown]
	ds_write_b64 v127, v[2:3] offset:1248
	v_mov_b32_e32 v93, v113
	v_mov_b32_e32 v85, v129
	;; [unrolled: 1-line block ×7, first 2 shown]
	ds_write_b64 v127, v[88:89] offset:936
	ds_write_b64 v127, v[92:93] offset:1560
	;; [unrolled: 1-line block ×3, first 2 shown]
	ds_write2_b64 v127, v[80:81], v[82:83] offset1:13
	ds_write_b64 v127, v[70:71] offset:416
	ds_write_b64 v127, v[2:3] offset:728
	v_pk_fma_f32 v[2:3], v[104:105], s[10:11], v[96:97] op_sel_hi:[1,0,1] neg_lo:[0,0,1] neg_hi:[0,0,1]
	v_pk_fma_f32 v[70:71], v[114:115], s[0:1], v[130:131] op_sel_hi:[1,0,1] neg_lo:[0,0,1] neg_hi:[0,0,1]
	v_pk_add_f32 v[2:3], v[2:3], v[86:87]
	v_pk_fma_f32 v[70:71], v[90:91], s[8:9], v[70:71] op_sel_hi:[1,0,1]
	v_accvgpr_read_b32 v0, a21
	v_pk_add_f32 v[80:81], v[2:3], v[70:71] neg_lo:[0,1] neg_hi:[0,1]
	v_pk_add_f32 v[2:3], v[2:3], v[70:71]
	v_lshl_add_u32 v168, v0, 3, v102
	v_mov_b32_e32 v73, v79
	v_mov_b32_e32 v74, v100
	;; [unrolled: 1-line block ×9, first 2 shown]
	v_add_u32_e32 v0, 0x400, v168
	v_mov_b32_e32 v144, v134
	ds_write_b64 v127, v[70:71] offset:1040
	ds_write_b64 v127, v[2:3] offset:1352
	;; [unrolled: 1-line block ×5, first 2 shown]
	ds_write2_b64 v168, v[66:67], v[76:77] offset0:65 offset1:104
	ds_write2_b64 v168, v[78:79], v[72:73] offset0:143 offset1:182
	;; [unrolled: 1-line block ×3, first 2 shown]
	s_waitcnt lgkmcnt(0)
	; wave barrier
	s_waitcnt lgkmcnt(0)
	global_load_dwordx2 v[2:3], v[106:107], off offset:2184
	s_add_u32 s8, s12, 0x888
	s_addc_u32 s9, s13, 0
	v_lshlrev_b32_e32 v0, 3, v138
	global_load_dwordx2 v[70:71], v0, s[8:9] offset:168
	global_load_dwordx2 v[88:89], v0, s[8:9] offset:336
	;; [unrolled: 1-line block ×12, first 2 shown]
	ds_read2_b64 v[80:83], v127 offset1:21
	ds_read2_b64 v[84:87], v127 offset0:42 offset1:63
	s_waitcnt vmcnt(12) lgkmcnt(1)
	v_mul_f32_e32 v1, v81, v3
	v_fma_f32 v112, v80, v2, -v1
	v_mul_f32_e32 v113, v80, v3
	s_waitcnt vmcnt(11)
	v_mul_f32_e32 v1, v83, v71
	v_mul_f32_e32 v3, v82, v71
	v_fmac_f32_e32 v113, v81, v2
	v_fma_f32 v2, v82, v70, -v1
	v_fmac_f32_e32 v3, v83, v70
	ds_read2_b64 v[80:83], v127 offset0:84 offset1:105
	s_waitcnt vmcnt(10) lgkmcnt(1)
	v_mul_f32_e32 v1, v85, v89
	ds_write2_b64 v127, v[112:113], v[2:3] offset1:21
	v_fma_f32 v2, v84, v88, -v1
	v_mul_f32_e32 v3, v84, v89
	s_waitcnt vmcnt(9)
	v_mul_f32_e32 v1, v87, v91
	v_mul_f32_e32 v71, v86, v91
	v_fmac_f32_e32 v3, v85, v88
	v_fma_f32 v70, v86, v90, -v1
	v_fmac_f32_e32 v71, v87, v90
	s_waitcnt vmcnt(8) lgkmcnt(1)
	v_mul_f32_e32 v1, v81, v93
	ds_read2_b64 v[84:87], v127 offset0:126 offset1:147
	ds_write2_b64 v127, v[2:3], v[70:71] offset0:42 offset1:63
	v_fma_f32 v2, v80, v92, -v1
	v_mul_f32_e32 v3, v80, v93
	s_waitcnt vmcnt(7)
	v_mul_f32_e32 v1, v83, v95
	v_mul_f32_e32 v71, v82, v95
	v_fmac_f32_e32 v3, v81, v92
	v_fma_f32 v70, v82, v94, -v1
	v_fmac_f32_e32 v71, v83, v94
	ds_read2_b64 v[80:83], v127 offset0:168 offset1:189
	s_waitcnt vmcnt(6) lgkmcnt(2)
	v_mul_f32_e32 v1, v85, v97
	ds_write2_b64 v127, v[2:3], v[70:71] offset0:84 offset1:105
	v_fma_f32 v2, v84, v96, -v1
	v_mul_f32_e32 v3, v84, v97
	s_waitcnt vmcnt(5)
	v_mul_f32_e32 v1, v87, v99
	v_mul_f32_e32 v71, v86, v99
	v_fmac_f32_e32 v3, v85, v96
	v_fma_f32 v70, v86, v98, -v1
	v_fmac_f32_e32 v71, v87, v98
	s_waitcnt vmcnt(4) lgkmcnt(1)
	v_mul_f32_e32 v1, v81, v101
	ds_read2_b64 v[84:87], v127 offset0:210 offset1:231
	ds_write2_b64 v127, v[2:3], v[70:71] offset0:126 offset1:147
	v_fma_f32 v2, v80, v100, -v1
	v_mul_f32_e32 v3, v80, v101
	s_waitcnt vmcnt(3)
	v_mul_f32_e32 v1, v83, v103
	v_mul_f32_e32 v71, v82, v103
	v_fmac_f32_e32 v3, v81, v100
	v_fma_f32 v70, v82, v102, -v1
	v_fmac_f32_e32 v71, v83, v102
	ds_write2_b64 v127, v[2:3], v[70:71] offset0:168 offset1:189
	ds_read_b64 v[70:71], v127 offset:2016
	s_waitcnt vmcnt(2) lgkmcnt(3)
	v_mul_f32_e32 v1, v85, v105
	v_fma_f32 v2, v84, v104, -v1
	v_mul_f32_e32 v3, v84, v105
	s_waitcnt vmcnt(1)
	v_mul_f32_e32 v1, v87, v109
	v_mul_f32_e32 v81, v86, v109
	v_fmac_f32_e32 v3, v85, v104
	v_fma_f32 v80, v86, v108, -v1
	v_fmac_f32_e32 v81, v87, v108
	ds_write2_b64 v127, v[2:3], v[80:81] offset0:210 offset1:231
	s_waitcnt vmcnt(0) lgkmcnt(1)
	v_mul_f32_e32 v1, v71, v111
	v_mul_f32_e32 v3, v70, v111
	v_fma_f32 v2, v70, v110, -v1
	v_fmac_f32_e32 v3, v71, v110
	ds_write_b64 v127, v[2:3] offset:2016
	s_and_saveexec_b64 s[0:1], vcc
	s_cbranch_execz .LBB0_9
; %bb.8:
	v_mov_b32_e32 v1, 0
	v_lshl_add_u64 v[0:1], s[8:9], 0, v[0:1]
	global_load_dwordx2 v[2:3], v[0:1], off offset:104
	global_load_dwordx2 v[70:71], v[0:1], off offset:272
	;; [unrolled: 1-line block ×12, first 2 shown]
	s_nop 0
	global_load_dwordx2 v[0:1], v[0:1], off offset:2120
	ds_read2_b64 v[80:83], v127 offset0:13 offset1:34
	ds_read2_b64 v[84:87], v127 offset0:55 offset1:76
	;; [unrolled: 1-line block ×6, first 2 shown]
	ds_read_b64 v[128:129], v127 offset:2120
	s_waitcnt vmcnt(12) lgkmcnt(6)
	v_mul_f32_e32 v130, v81, v3
	v_mul_f32_e32 v131, v80, v3
	s_waitcnt vmcnt(11)
	v_mul_f32_e32 v132, v83, v71
	v_mul_f32_e32 v3, v82, v71
	s_waitcnt vmcnt(10) lgkmcnt(5)
	v_mul_f32_e32 v133, v85, v105
	v_mul_f32_e32 v71, v84, v105
	s_waitcnt vmcnt(9)
	v_mul_f32_e32 v134, v87, v109
	v_mul_f32_e32 v105, v86, v109
	;; [unrolled: 6-line block ×6, first 2 shown]
	s_waitcnt vmcnt(0) lgkmcnt(0)
	v_mul_f32_e32 v143, v129, v1
	v_mul_f32_e32 v125, v128, v1
	v_fma_f32 v130, v80, v2, -v130
	v_fmac_f32_e32 v131, v81, v2
	v_fma_f32 v2, v82, v70, -v132
	v_fmac_f32_e32 v3, v83, v70
	v_fma_f32 v70, v84, v104, -v133
	v_fmac_f32_e32 v71, v85, v104
	v_fma_f32 v104, v86, v108, -v134
	v_fmac_f32_e32 v105, v87, v108
	v_fma_f32 v108, v88, v110, -v135
	v_fmac_f32_e32 v109, v89, v110
	v_fma_f32 v110, v90, v112, -v136
	v_fmac_f32_e32 v111, v91, v112
	v_fma_f32 v112, v92, v114, -v137
	v_fmac_f32_e32 v113, v93, v114
	v_fma_f32 v114, v94, v116, -v138
	v_fmac_f32_e32 v115, v95, v116
	v_fma_f32 v116, v96, v118, -v139
	v_fmac_f32_e32 v117, v97, v118
	v_fma_f32 v118, v98, v120, -v140
	v_fmac_f32_e32 v119, v99, v120
	v_fma_f32 v120, v100, v122, -v141
	v_fmac_f32_e32 v121, v101, v122
	v_fma_f32 v122, v102, v124, -v142
	v_fmac_f32_e32 v123, v103, v124
	v_fma_f32 v124, v128, v0, -v143
	v_fmac_f32_e32 v125, v129, v0
	ds_write2_b64 v127, v[130:131], v[2:3] offset0:13 offset1:34
	ds_write2_b64 v127, v[70:71], v[104:105] offset0:55 offset1:76
	ds_write2_b64 v127, v[108:109], v[110:111] offset0:97 offset1:118
	ds_write2_b64 v127, v[112:113], v[114:115] offset0:139 offset1:160
	ds_write2_b64 v127, v[116:117], v[118:119] offset0:181 offset1:202
	ds_write2_b64 v127, v[120:121], v[122:123] offset0:223 offset1:244
	ds_write_b64 v127, v[124:125] offset:2120
.LBB0_9:
	s_or_b64 exec, exec, s[0:1]
	s_waitcnt lgkmcnt(0)
	; wave barrier
	s_waitcnt lgkmcnt(0)
	ds_read2_b64 v[80:83], v127 offset1:21
	ds_read2_b64 v[96:99], v127 offset0:42 offset1:63
	ds_read2_b64 v[88:91], v127 offset0:84 offset1:105
	;; [unrolled: 1-line block ×5, first 2 shown]
	ds_read_b64 v[166:167], v127 offset:2016
	s_and_saveexec_b64 s[0:1], vcc
	s_cbranch_execz .LBB0_11
; %bb.10:
	v_accvgpr_read_b32 v0, a0
	v_accvgpr_read_b32 v1, a1
	v_lshl_add_u32 v0, v0, 3, v1
	v_add_u32_e32 v1, 0x400, v0
	ds_read_b64 v[144:145], v127 offset:104
	ds_read2_b64 v[64:67], v0 offset0:34 offset1:55
	ds_read2_b64 v[108:111], v1 offset0:116 offset1:137
	;; [unrolled: 1-line block ×6, first 2 shown]
	s_waitcnt lgkmcnt(4)
	v_accvgpr_write_b32 a30, v110
	v_accvgpr_write_b32 a32, v108
	s_waitcnt lgkmcnt(3)
	v_accvgpr_write_b32 a34, v142
	v_accvgpr_write_b32 a36, v140
	s_waitcnt lgkmcnt(1)
	v_accvgpr_write_b32 a38, v70
	v_accvgpr_write_b32 a31, v111
	v_accvgpr_write_b32 a33, v109
	v_accvgpr_write_b32 a35, v143
	v_accvgpr_write_b32 a37, v141
	v_accvgpr_write_b32 a39, v71
.LBB0_11:
	s_or_b64 exec, exec, s[0:1]
	v_add_u32_e32 v2, 0xd0, v168
	v_accvgpr_write_b32 a21, v2
	s_waitcnt lgkmcnt(6)
	v_pk_add_f32 v[2:3], v[80:81], v[82:83]
	s_waitcnt lgkmcnt(0)
	v_pk_add_f32 v[108:109], v[82:83], v[166:167] neg_lo:[0,1] neg_hi:[0,1]
	v_pk_add_f32 v[2:3], v[2:3], v[96:97]
	v_pk_add_f32 v[104:105], v[166:167], v[82:83]
	v_pk_add_f32 v[2:3], v[2:3], v[98:99]
	s_mov_b32 s0, 0x3f62ad3f
	v_pk_add_f32 v[2:3], v[2:3], v[88:89]
	v_pk_mul_f32 v[110:111], v[108:109], s[40:41] op_sel_hi:[1,0]
	v_pk_add_f32 v[2:3], v[2:3], v[90:91]
	v_pk_add_f32 v[114:115], v[96:97], v[102:103] neg_lo:[0,1] neg_hi:[0,1]
	v_pk_add_f32 v[2:3], v[2:3], v[84:85]
	s_mov_b32 s20, 0xbf52af12
	v_pk_add_f32 v[2:3], v[2:3], v[86:87]
	v_pk_fma_f32 v[82:83], v[104:105], s[0:1], v[110:111] op_sel:[0,0,1] op_sel_hi:[1,0,0]
	v_pk_add_f32 v[2:3], v[2:3], v[92:93]
	v_pk_add_f32 v[112:113], v[102:103], v[96:97]
	;; [unrolled: 1-line block ×3, first 2 shown]
	s_mov_b32 s8, 0x3f116cb1
	v_pk_add_f32 v[2:3], v[2:3], v[100:101]
	v_pk_add_f32 v[118:119], v[98:99], v[100:101] neg_lo:[0,1] neg_hi:[0,1]
	v_pk_add_f32 v[2:3], v[2:3], v[102:103]
	v_pk_mul_f32 v[102:103], v[114:115], s[20:21] op_sel_hi:[1,0]
	v_pk_add_f32 v[2:3], v[2:3], v[166:167]
	v_pk_fma_f32 v[166:167], v[104:105], s[0:1], v[110:111] op_sel:[0,0,1] op_sel_hi:[1,0,0] neg_lo:[0,0,1] neg_hi:[0,0,1]
	v_mov_b32_e32 v110, v82
	v_mov_b32_e32 v111, v167
	v_pk_fma_f32 v[96:97], v[112:113], s[8:9], v[102:103] op_sel:[0,0,1] op_sel_hi:[1,0,0]
	v_pk_fma_f32 v[102:103], v[112:113], s[8:9], v[102:103] op_sel:[0,0,1] op_sel_hi:[1,0,0] neg_lo:[0,0,1] neg_hi:[0,0,1]
	v_pk_add_f32 v[110:111], v[80:81], v[110:111]
	v_mov_b32_e32 v116, v96
	v_mov_b32_e32 v117, v103
	s_mov_b32 s28, 0xbf7e222b
	v_pk_add_f32 v[110:111], v[116:117], v[110:111]
	v_pk_add_f32 v[116:117], v[100:101], v[98:99]
	s_mov_b32 s10, 0x3df6dbef
	v_pk_mul_f32 v[100:101], v[118:119], s[28:29] op_sel_hi:[1,0]
	v_pk_add_f32 v[122:123], v[88:89], v[94:95] neg_lo:[0,1] neg_hi:[0,1]
	v_pk_fma_f32 v[98:99], v[116:117], s[10:11], v[100:101] op_sel:[0,0,1] op_sel_hi:[1,0,0]
	v_pk_fma_f32 v[100:101], v[116:117], s[10:11], v[100:101] op_sel:[0,0,1] op_sel_hi:[1,0,0] neg_lo:[0,0,1] neg_hi:[0,0,1]
	v_mov_b32_e32 v120, v98
	v_mov_b32_e32 v121, v101
	s_mov_b32 s14, 0xbf6f5d39
	v_pk_add_f32 v[110:111], v[120:121], v[110:111]
	v_pk_add_f32 v[120:121], v[94:95], v[88:89]
	s_mov_b32 s12, 0xbeb58ec6
	v_pk_mul_f32 v[94:95], v[122:123], s[14:15] op_sel_hi:[1,0]
	v_pk_add_f32 v[128:129], v[90:91], v[92:93] neg_lo:[0,1] neg_hi:[0,1]
	v_pk_fma_f32 v[88:89], v[120:121], s[12:13], v[94:95] op_sel:[0,0,1] op_sel_hi:[1,0,0]
	v_pk_fma_f32 v[94:95], v[120:121], s[12:13], v[94:95] op_sel:[0,0,1] op_sel_hi:[1,0,0] neg_lo:[0,0,1] neg_hi:[0,0,1]
	;; [unrolled: 10-line block ×3, first 2 shown]
	v_mov_b32_e32 v130, v90
	v_mov_b32_e32 v131, v93
	s_mov_b32 s24, 0xbe750f2a
	v_pk_add_f32 v[110:111], v[130:131], v[110:111]
	v_pk_add_f32 v[130:131], v[86:87], v[84:85]
	s_mov_b32 s22, 0xbf788fa5
	v_pk_mul_f32 v[86:87], v[132:133], s[24:25] op_sel_hi:[1,0]
	s_nop 0
	v_pk_fma_f32 v[84:85], v[130:131], s[22:23], v[86:87] op_sel:[0,0,1] op_sel_hi:[1,0,0]
	v_pk_fma_f32 v[86:87], v[130:131], s[22:23], v[86:87] op_sel:[0,0,1] op_sel_hi:[1,0,0] neg_lo:[0,0,1] neg_hi:[0,0,1]
	v_mov_b32_e32 v134, v84
	v_mov_b32_e32 v135, v87
	v_pk_add_f32 v[110:111], v[134:135], v[110:111]
	; wave barrier
	ds_write2_b64 v126, v[2:3], v[110:111] offset1:1
	v_pk_mul_f32 v[2:3], v[108:109], s[20:21] op_sel_hi:[1,0]
	v_pk_mul_f32 v[110:111], v[114:115], s[14:15] op_sel_hi:[1,0]
	v_pk_fma_f32 v[168:169], v[104:105], s[8:9], v[2:3] op_sel:[0,0,1] op_sel_hi:[1,0,0]
	v_pk_fma_f32 v[170:171], v[104:105], s[8:9], v[2:3] op_sel:[0,0,1] op_sel_hi:[1,0,0] neg_lo:[0,0,1] neg_hi:[0,0,1]
	v_mov_b32_e32 v2, v168
	v_mov_b32_e32 v3, v171
	v_pk_fma_f32 v[172:173], v[112:113], s[12:13], v[110:111] op_sel:[0,0,1] op_sel_hi:[1,0,0]
	v_pk_fma_f32 v[174:175], v[112:113], s[12:13], v[110:111] op_sel:[0,0,1] op_sel_hi:[1,0,0] neg_lo:[0,0,1] neg_hi:[0,0,1]
	v_pk_add_f32 v[2:3], v[80:81], v[2:3]
	v_mov_b32_e32 v110, v172
	v_mov_b32_e32 v111, v175
	v_pk_add_f32 v[2:3], v[110:111], v[2:3]
	v_pk_mul_f32 v[110:111], v[118:119], s[24:25] op_sel_hi:[1,0]
	s_mov_b32 s34, 0x3f29c268
	v_pk_fma_f32 v[176:177], v[116:117], s[22:23], v[110:111] op_sel:[0,0,1] op_sel_hi:[1,0,0]
	v_pk_fma_f32 v[178:179], v[116:117], s[22:23], v[110:111] op_sel:[0,0,1] op_sel_hi:[1,0,0] neg_lo:[0,0,1] neg_hi:[0,0,1]
	v_mov_b32_e32 v110, v176
	v_mov_b32_e32 v111, v179
	v_pk_add_f32 v[2:3], v[110:111], v[2:3]
	v_pk_mul_f32 v[110:111], v[122:123], s[34:35] op_sel_hi:[1,0]
	s_mov_b32 s26, 0x3f7e222b
	v_pk_fma_f32 v[180:181], v[120:121], s[16:17], v[110:111] op_sel:[0,0,1] op_sel_hi:[1,0,0]
	v_pk_fma_f32 v[182:183], v[120:121], s[16:17], v[110:111] op_sel:[0,0,1] op_sel_hi:[1,0,0] neg_lo:[0,0,1] neg_hi:[0,0,1]
	;; [unrolled: 7-line block ×3, first 2 shown]
	v_mov_b32_e32 v110, v184
	v_mov_b32_e32 v111, v187
	v_pk_add_f32 v[2:3], v[110:111], v[2:3]
	v_pk_mul_f32 v[110:111], v[132:133], s[30:31] op_sel_hi:[1,0]
	v_pk_mul_f32 v[138:139], v[114:115], s[24:25] op_sel_hi:[1,0]
	v_pk_fma_f32 v[188:189], v[130:131], s[0:1], v[110:111] op_sel:[0,0,1] op_sel_hi:[1,0,0]
	v_pk_fma_f32 v[190:191], v[130:131], s[0:1], v[110:111] op_sel:[0,0,1] op_sel_hi:[1,0,0] neg_lo:[0,0,1] neg_hi:[0,0,1]
	v_mov_b32_e32 v110, v188
	v_mov_b32_e32 v111, v191
	v_pk_add_f32 v[2:3], v[110:111], v[2:3]
	v_pk_mul_f32 v[110:111], v[108:109], s[28:29] op_sel_hi:[1,0]
	v_pk_fma_f32 v[140:141], v[112:113], s[22:23], v[138:139] op_sel:[0,0,1] op_sel_hi:[1,0,0]
	v_pk_fma_f32 v[134:135], v[104:105], s[10:11], v[110:111] op_sel:[0,0,1] op_sel_hi:[1,0,0]
	v_pk_fma_f32 v[110:111], v[104:105], s[10:11], v[110:111] op_sel:[0,0,1] op_sel_hi:[1,0,0] neg_lo:[0,0,1] neg_hi:[0,0,1]
	v_mov_b32_e32 v136, v134
	v_mov_b32_e32 v137, v111
	v_pk_fma_f32 v[138:139], v[112:113], s[22:23], v[138:139] op_sel:[0,0,1] op_sel_hi:[1,0,0] neg_lo:[0,0,1] neg_hi:[0,0,1]
	v_pk_add_f32 v[136:137], v[80:81], v[136:137]
	v_mov_b32_e32 v142, v140
	v_mov_b32_e32 v143, v139
	s_mov_b32 s42, 0x3f6f5d39
	v_pk_add_f32 v[136:137], v[142:143], v[136:137]
	v_pk_mul_f32 v[142:143], v[118:119], s[42:43] op_sel_hi:[1,0]
	v_pk_mul_f32 v[216:217], v[114:115], s[34:35] op_sel_hi:[1,0]
	v_pk_fma_f32 v[200:201], v[116:117], s[12:13], v[142:143] op_sel:[0,0,1] op_sel_hi:[1,0,0]
	v_pk_fma_f32 v[142:143], v[116:117], s[12:13], v[142:143] op_sel:[0,0,1] op_sel_hi:[1,0,0] neg_lo:[0,0,1] neg_hi:[0,0,1]
	v_mov_b32_e32 v202, v200
	v_mov_b32_e32 v203, v143
	v_pk_add_f32 v[136:137], v[202:203], v[136:137]
	v_pk_mul_f32 v[202:203], v[122:123], s[30:31] op_sel_hi:[1,0]
	v_pk_fma_f32 v[218:219], v[112:113], s[16:17], v[216:217] op_sel:[0,0,1] op_sel_hi:[1,0,0]
	v_pk_fma_f32 v[204:205], v[120:121], s[0:1], v[202:203] op_sel:[0,0,1] op_sel_hi:[1,0,0]
	v_pk_fma_f32 v[202:203], v[120:121], s[0:1], v[202:203] op_sel:[0,0,1] op_sel_hi:[1,0,0] neg_lo:[0,0,1] neg_hi:[0,0,1]
	v_mov_b32_e32 v206, v204
	v_mov_b32_e32 v207, v203
	v_pk_add_f32 v[136:137], v[206:207], v[136:137]
	v_pk_mul_f32 v[206:207], v[128:129], s[20:21] op_sel_hi:[1,0]
	v_pk_fma_f32 v[216:217], v[112:113], s[16:17], v[216:217] op_sel:[0,0,1] op_sel_hi:[1,0,0] neg_lo:[0,0,1] neg_hi:[0,0,1]
	v_pk_fma_f32 v[208:209], v[124:125], s[8:9], v[206:207] op_sel:[0,0,1] op_sel_hi:[1,0,0]
	v_pk_fma_f32 v[206:207], v[124:125], s[8:9], v[206:207] op_sel:[0,0,1] op_sel_hi:[1,0,0] neg_lo:[0,0,1] neg_hi:[0,0,1]
	v_mov_b32_e32 v210, v208
	v_mov_b32_e32 v211, v207
	v_pk_add_f32 v[136:137], v[210:211], v[136:137]
	v_pk_mul_f32 v[210:211], v[132:133], s[18:19] op_sel_hi:[1,0]
	v_mov_b32_e32 v220, v218
	v_pk_fma_f32 v[212:213], v[130:131], s[16:17], v[210:211] op_sel:[0,0,1] op_sel_hi:[1,0,0]
	v_pk_fma_f32 v[210:211], v[130:131], s[16:17], v[210:211] op_sel:[0,0,1] op_sel_hi:[1,0,0] neg_lo:[0,0,1] neg_hi:[0,0,1]
	v_mov_b32_e32 v214, v212
	v_mov_b32_e32 v215, v211
	v_pk_add_f32 v[136:137], v[214:215], v[136:137]
	ds_write2_b64 v126, v[2:3], v[136:137] offset0:2 offset1:3
	v_pk_mul_f32 v[2:3], v[108:109], s[14:15] op_sel_hi:[1,0]
	v_mov_b32_e32 v221, v217
	v_pk_fma_f32 v[136:137], v[104:105], s[12:13], v[2:3] op_sel:[0,0,1] op_sel_hi:[1,0,0]
	v_pk_fma_f32 v[2:3], v[104:105], s[12:13], v[2:3] op_sel:[0,0,1] op_sel_hi:[1,0,0] neg_lo:[0,0,1] neg_hi:[0,0,1]
	v_mov_b32_e32 v214, v136
	v_mov_b32_e32 v215, v3
	v_pk_add_f32 v[214:215], v[80:81], v[214:215]
	s_mov_b32 s38, 0x3e750f2a
	v_pk_add_f32 v[214:215], v[220:221], v[214:215]
	v_pk_mul_f32 v[220:221], v[118:119], s[30:31] op_sel_hi:[1,0]
	s_mov_b32 s36, 0x3f52af12
	v_pk_fma_f32 v[222:223], v[116:117], s[0:1], v[220:221] op_sel:[0,0,1] op_sel_hi:[1,0,0]
	v_pk_fma_f32 v[220:221], v[116:117], s[0:1], v[220:221] op_sel:[0,0,1] op_sel_hi:[1,0,0] neg_lo:[0,0,1] neg_hi:[0,0,1]
	v_mov_b32_e32 v224, v222
	v_mov_b32_e32 v225, v221
	v_pk_add_f32 v[214:215], v[224:225], v[214:215]
	v_pk_mul_f32 v[224:225], v[122:123], s[28:29] op_sel_hi:[1,0]
	v_pk_mul_f32 v[242:243], v[114:115], s[26:27] op_sel_hi:[1,0]
	v_pk_fma_f32 v[226:227], v[120:121], s[10:11], v[224:225] op_sel:[0,0,1] op_sel_hi:[1,0,0]
	v_pk_fma_f32 v[224:225], v[120:121], s[10:11], v[224:225] op_sel:[0,0,1] op_sel_hi:[1,0,0] neg_lo:[0,0,1] neg_hi:[0,0,1]
	v_mov_b32_e32 v228, v226
	v_mov_b32_e32 v229, v225
	v_pk_add_f32 v[214:215], v[228:229], v[214:215]
	v_pk_mul_f32 v[228:229], v[128:129], s[38:39] op_sel_hi:[1,0]
	v_pk_fma_f32 v[244:245], v[112:113], s[10:11], v[242:243] op_sel:[0,0,1] op_sel_hi:[1,0,0]
	v_pk_fma_f32 v[230:231], v[124:125], s[22:23], v[228:229] op_sel:[0,0,1] op_sel_hi:[1,0,0]
	v_pk_fma_f32 v[228:229], v[124:125], s[22:23], v[228:229] op_sel:[0,0,1] op_sel_hi:[1,0,0] neg_lo:[0,0,1] neg_hi:[0,0,1]
	v_mov_b32_e32 v232, v230
	v_mov_b32_e32 v233, v229
	v_pk_add_f32 v[214:215], v[232:233], v[214:215]
	v_pk_mul_f32 v[232:233], v[132:133], s[36:37] op_sel_hi:[1,0]
	v_pk_fma_f32 v[242:243], v[112:113], s[10:11], v[242:243] op_sel:[0,0,1] op_sel_hi:[1,0,0] neg_lo:[0,0,1] neg_hi:[0,0,1]
	v_pk_fma_f32 v[234:235], v[130:131], s[8:9], v[232:233] op_sel:[0,0,1] op_sel_hi:[1,0,0]
	v_pk_fma_f32 v[232:233], v[130:131], s[8:9], v[232:233] op_sel:[0,0,1] op_sel_hi:[1,0,0] neg_lo:[0,0,1] neg_hi:[0,0,1]
	v_mov_b32_e32 v236, v234
	v_mov_b32_e32 v237, v233
	v_pk_add_f32 v[214:215], v[236:237], v[214:215]
	v_pk_mul_f32 v[236:237], v[108:109], s[18:19] op_sel_hi:[1,0]
	v_mov_b32_e32 v246, v244
	v_pk_fma_f32 v[238:239], v[104:105], s[16:17], v[236:237] op_sel:[0,0,1] op_sel_hi:[1,0,0]
	v_pk_fma_f32 v[236:237], v[104:105], s[16:17], v[236:237] op_sel:[0,0,1] op_sel_hi:[1,0,0] neg_lo:[0,0,1] neg_hi:[0,0,1]
	v_mov_b32_e32 v240, v238
	v_mov_b32_e32 v241, v237
	v_pk_add_f32 v[240:241], v[80:81], v[240:241]
	v_mov_b32_e32 v247, v243
	v_pk_add_f32 v[240:241], v[246:247], v[240:241]
	v_pk_mul_f32 v[246:247], v[118:119], s[20:21] op_sel_hi:[1,0]
	v_pk_mul_f32 v[108:109], v[108:109], s[24:25] op_sel_hi:[1,0]
	v_pk_fma_f32 v[248:249], v[116:117], s[8:9], v[246:247] op_sel:[0,0,1] op_sel_hi:[1,0,0]
	v_pk_fma_f32 v[246:247], v[116:117], s[8:9], v[246:247] op_sel:[0,0,1] op_sel_hi:[1,0,0] neg_lo:[0,0,1] neg_hi:[0,0,1]
	v_mov_b32_e32 v250, v248
	v_mov_b32_e32 v251, v247
	v_pk_add_f32 v[240:241], v[250:251], v[240:241]
	v_pk_mul_f32 v[250:251], v[122:123], s[38:39] op_sel_hi:[1,0]
	v_pk_mul_f32 v[114:115], v[114:115], s[30:31] op_sel_hi:[1,0]
	v_pk_fma_f32 v[252:253], v[120:121], s[22:23], v[250:251] op_sel:[0,0,1] op_sel_hi:[1,0,0]
	v_pk_fma_f32 v[250:251], v[120:121], s[22:23], v[250:251] op_sel:[0,0,1] op_sel_hi:[1,0,0] neg_lo:[0,0,1] neg_hi:[0,0,1]
	v_mov_b32_e32 v254, v252
	v_mov_b32_e32 v255, v251
	v_pk_add_f32 v[240:241], v[254:255], v[240:241]
	v_pk_mul_f32 v[254:255], v[128:129], s[30:31] op_sel_hi:[1,0]
	v_mov_b32_e32 v237, v239
	v_pk_fma_f32 v[192:193], v[124:125], s[0:1], v[254:255] op_sel:[0,0,1] op_sel_hi:[1,0,0]
	v_pk_fma_f32 v[254:255], v[124:125], s[0:1], v[254:255] op_sel:[0,0,1] op_sel_hi:[1,0,0] neg_lo:[0,0,1] neg_hi:[0,0,1]
	v_mov_b32_e32 v198, v192
	v_mov_b32_e32 v199, v255
	v_pk_add_f32 v[198:199], v[198:199], v[240:241]
	v_pk_mul_f32 v[240:241], v[132:133], s[14:15] op_sel_hi:[1,0]
	v_mov_b32_e32 v3, v137
	v_pk_fma_f32 v[196:197], v[130:131], s[12:13], v[240:241] op_sel:[0,0,1] op_sel_hi:[1,0,0]
	v_pk_fma_f32 v[240:241], v[130:131], s[12:13], v[240:241] op_sel:[0,0,1] op_sel_hi:[1,0,0] neg_lo:[0,0,1] neg_hi:[0,0,1]
	v_mov_b32_e32 v194, v196
	v_mov_b32_e32 v195, v241
	v_pk_add_f32 v[194:195], v[194:195], v[198:199]
	ds_write2_b64 v126, v[214:215], v[194:195] offset0:4 offset1:5
	v_pk_fma_f32 v[194:195], v[104:105], s[22:23], v[108:109] op_sel:[0,0,1] op_sel_hi:[1,0,0]
	v_pk_fma_f32 v[104:105], v[104:105], s[22:23], v[108:109] op_sel:[0,0,1] op_sel_hi:[1,0,0] neg_lo:[0,0,1] neg_hi:[0,0,1]
	v_mov_b32_e32 v108, v194
	v_mov_b32_e32 v109, v105
	v_pk_fma_f32 v[198:199], v[112:113], s[0:1], v[114:115] op_sel:[0,0,1] op_sel_hi:[1,0,0]
	v_pk_fma_f32 v[112:113], v[112:113], s[0:1], v[114:115] op_sel:[0,0,1] op_sel_hi:[1,0,0] neg_lo:[0,0,1] neg_hi:[0,0,1]
	v_pk_add_f32 v[108:109], v[80:81], v[108:109]
	v_mov_b32_e32 v114, v198
	v_mov_b32_e32 v115, v113
	v_pk_add_f32 v[108:109], v[114:115], v[108:109]
	v_pk_mul_f32 v[114:115], v[118:119], s[18:19] op_sel_hi:[1,0]
	v_mov_b32_e32 v105, v195
	v_pk_fma_f32 v[118:119], v[116:117], s[16:17], v[114:115] op_sel:[0,0,1] op_sel_hi:[1,0,0]
	v_pk_fma_f32 v[114:115], v[116:117], s[16:17], v[114:115] op_sel:[0,0,1] op_sel_hi:[1,0,0] neg_lo:[0,0,1] neg_hi:[0,0,1]
	v_mov_b32_e32 v116, v118
	v_mov_b32_e32 v117, v115
	v_pk_add_f32 v[108:109], v[116:117], v[108:109]
	v_pk_mul_f32 v[116:117], v[122:123], s[36:37] op_sel_hi:[1,0]
	v_pk_add_f32 v[104:105], v[80:81], v[104:105]
	v_pk_fma_f32 v[122:123], v[120:121], s[8:9], v[116:117] op_sel:[0,0,1] op_sel_hi:[1,0,0]
	v_pk_fma_f32 v[116:117], v[120:121], s[8:9], v[116:117] op_sel:[0,0,1] op_sel_hi:[1,0,0] neg_lo:[0,0,1] neg_hi:[0,0,1]
	v_mov_b32_e32 v120, v122
	v_mov_b32_e32 v121, v117
	v_pk_add_f32 v[108:109], v[120:121], v[108:109]
	v_pk_mul_f32 v[120:121], v[128:129], s[14:15] op_sel_hi:[1,0]
	v_mov_b32_e32 v113, v199
	v_pk_fma_f32 v[128:129], v[124:125], s[12:13], v[120:121] op_sel:[0,0,1] op_sel_hi:[1,0,0]
	v_pk_fma_f32 v[120:121], v[124:125], s[12:13], v[120:121] op_sel:[0,0,1] op_sel_hi:[1,0,0] neg_lo:[0,0,1] neg_hi:[0,0,1]
	v_mov_b32_e32 v124, v128
	v_mov_b32_e32 v125, v121
	v_pk_add_f32 v[104:105], v[112:113], v[104:105]
	v_mov_b32_e32 v115, v119
	v_pk_add_f32 v[108:109], v[124:125], v[108:109]
	v_pk_mul_f32 v[124:125], v[132:133], s[26:27] op_sel_hi:[1,0]
	v_pk_add_f32 v[104:105], v[114:115], v[104:105]
	v_mov_b32_e32 v117, v123
	v_pk_fma_f32 v[132:133], v[130:131], s[10:11], v[124:125] op_sel:[0,0,1] op_sel_hi:[1,0,0]
	v_pk_fma_f32 v[124:125], v[130:131], s[10:11], v[124:125] op_sel:[0,0,1] op_sel_hi:[1,0,0] neg_lo:[0,0,1] neg_hi:[0,0,1]
	v_pk_add_f32 v[104:105], v[116:117], v[104:105]
	v_mov_b32_e32 v121, v129
	v_mov_b32_e32 v130, v132
	;; [unrolled: 1-line block ×3, first 2 shown]
	v_pk_add_f32 v[104:105], v[120:121], v[104:105]
	v_mov_b32_e32 v125, v133
	v_pk_add_f32 v[108:109], v[130:131], v[108:109]
	v_pk_add_f32 v[104:105], v[124:125], v[104:105]
	ds_write2_b64 v126, v[108:109], v[104:105] offset0:6 offset1:7
	v_pk_add_f32 v[104:105], v[80:81], v[236:237]
	v_mov_b32_e32 v243, v245
	v_pk_add_f32 v[2:3], v[80:81], v[2:3]
	v_mov_b32_e32 v217, v219
	;; [unrolled: 2-line block ×10, first 2 shown]
	v_pk_add_f32 v[104:105], v[240:241], v[104:105]
	v_pk_add_f32 v[2:3], v[232:233], v[2:3]
	v_mov_b32_e32 v111, v135
	v_mov_b32_e32 v171, v169
	ds_write2_b64 v126, v[104:105], v[2:3] offset0:8 offset1:9
	v_pk_add_f32 v[2:3], v[80:81], v[110:111]
	v_mov_b32_e32 v139, v141
	v_pk_add_f32 v[104:105], v[80:81], v[170:171]
	v_mov_b32_e32 v175, v173
	;; [unrolled: 2-line block ×10, first 2 shown]
	v_pk_add_f32 v[2:3], v[210:211], v[2:3]
	v_pk_add_f32 v[104:105], v[190:191], v[104:105]
	v_mov_b32_e32 v167, v83
	ds_write2_b64 v126, v[2:3], v[104:105] offset0:10 offset1:11
	v_pk_add_f32 v[2:3], v[80:81], v[166:167]
	v_mov_b32_e32 v103, v97
	v_pk_add_f32 v[2:3], v[102:103], v[2:3]
	v_mov_b32_e32 v101, v99
	;; [unrolled: 2-line block ×5, first 2 shown]
	v_mov_b32_e32 v70, v8
	v_mov_b32_e32 v71, v8
	;; [unrolled: 1-line block ×36, first 2 shown]
	v_pk_add_f32 v[2:3], v[86:87], v[2:3]
	ds_write_b64 v126, v[2:3] offset:96
	s_and_saveexec_b64 s[44:45], vcc
	s_cbranch_execz .LBB0_13
; %bb.12:
	v_pk_add_f32 v[2:3], v[64:65], v[144:145]
	v_accvgpr_read_b32 v91, a39
	v_pk_add_f32 v[2:3], v[66:67], v[2:3]
	v_accvgpr_read_b32 v80, a1
	;; [unrolled: 2-line block ×5, first 2 shown]
	v_pk_add_f32 v[2:3], v[74:75], v[2:3]
	v_lshl_add_u32 v126, v81, 3, v80
	v_pk_add_f32 v[2:3], v[68:69], v[2:3]
	v_accvgpr_read_b32 v86, a36
	v_pk_add_f32 v[2:3], v[90:91], v[2:3]
	v_accvgpr_read_b32 v85, a35
	v_accvgpr_read_b32 v81, a31
	v_pk_add_f32 v[2:3], v[86:87], v[2:3]
	v_accvgpr_read_b32 v84, a34
	v_accvgpr_read_b32 v83, a33
	;; [unrolled: 1-line block ×3, first 2 shown]
	v_pk_add_f32 v[2:3], v[84:85], v[2:3]
	v_accvgpr_read_b32 v82, a32
	v_pk_add_f32 v[108:109], v[64:65], v[80:81] neg_lo:[0,1] neg_hi:[0,1]
	v_pk_add_f32 v[2:3], v[82:83], v[2:3]
	v_pk_add_f32 v[104:105], v[80:81], v[64:65]
	v_pk_mul_f32 v[64:65], v[108:109], s[40:41] op_sel_hi:[1,0]
	v_pk_add_f32 v[88:89], v[80:81], v[2:3]
	v_pk_add_f32 v[112:113], v[66:67], v[82:83] neg_lo:[0,1] neg_hi:[0,1]
	v_pk_fma_f32 v[2:3], v[104:105], s[0:1], v[64:65] op_sel:[0,0,1] op_sel_hi:[1,0,0]
	v_pk_fma_f32 v[64:65], v[104:105], s[0:1], v[64:65] op_sel:[0,0,1] op_sel_hi:[1,0,0] neg_lo:[0,0,1] neg_hi:[0,0,1]
	v_pk_add_f32 v[110:111], v[82:83], v[66:67]
	v_pk_add_f32 v[166:167], v[68:69], v[74:75]
	v_pk_add_f32 v[128:129], v[74:75], v[68:69] neg_lo:[0,1] neg_hi:[0,1]
	v_mov_b32_e32 v66, v2
	v_mov_b32_e32 v67, v65
	v_pk_mul_f32 v[68:69], v[112:113], s[20:21] op_sel_hi:[1,0]
	v_pk_add_f32 v[122:123], v[90:91], v[72:73]
	v_pk_add_f32 v[124:125], v[72:73], v[90:91] neg_lo:[0,1] neg_hi:[0,1]
	v_pk_add_f32 v[72:73], v[144:145], v[66:67]
	v_pk_fma_f32 v[66:67], v[110:111], s[8:9], v[68:69] op_sel:[0,0,1] op_sel_hi:[1,0,0]
	v_pk_fma_f32 v[68:69], v[110:111], s[8:9], v[68:69] op_sel:[0,0,1] op_sel_hi:[1,0,0] neg_lo:[0,0,1] neg_hi:[0,0,1]
	v_pk_add_f32 v[116:117], v[76:77], v[84:85] neg_lo:[0,1] neg_hi:[0,1]
	v_mov_b32_e32 v74, v66
	v_mov_b32_e32 v75, v69
	v_pk_add_f32 v[114:115], v[84:85], v[76:77]
	v_pk_add_f32 v[76:77], v[74:75], v[72:73]
	v_pk_mul_f32 v[74:75], v[116:117], s[28:29] op_sel_hi:[1,0]
	v_pk_add_f32 v[118:119], v[86:87], v[78:79]
	v_pk_fma_f32 v[72:73], v[114:115], s[10:11], v[74:75] op_sel:[0,0,1] op_sel_hi:[1,0,0]
	v_pk_fma_f32 v[74:75], v[114:115], s[10:11], v[74:75] op_sel:[0,0,1] op_sel_hi:[1,0,0] neg_lo:[0,0,1] neg_hi:[0,0,1]
	v_pk_add_f32 v[120:121], v[78:79], v[86:87] neg_lo:[0,1] neg_hi:[0,1]
	v_mov_b32_e32 v78, v72
	v_mov_b32_e32 v79, v75
	v_pk_add_f32 v[80:81], v[78:79], v[76:77]
	v_pk_mul_f32 v[78:79], v[120:121], s[14:15] op_sel_hi:[1,0]
	v_pk_mul_f32 v[94:95], v[112:113], s[14:15] op_sel_hi:[1,0]
	v_pk_fma_f32 v[76:77], v[118:119], s[12:13], v[78:79] op_sel:[0,0,1] op_sel_hi:[1,0,0]
	v_pk_fma_f32 v[78:79], v[118:119], s[12:13], v[78:79] op_sel:[0,0,1] op_sel_hi:[1,0,0] neg_lo:[0,0,1] neg_hi:[0,0,1]
	v_mov_b32_e32 v82, v76
	v_mov_b32_e32 v83, v79
	v_pk_add_f32 v[84:85], v[82:83], v[80:81]
	v_pk_mul_f32 v[82:83], v[124:125], s[18:19] op_sel_hi:[1,0]
	v_pk_mul_f32 v[170:171], v[112:113], s[24:25] op_sel_hi:[1,0]
	v_pk_fma_f32 v[80:81], v[122:123], s[16:17], v[82:83] op_sel:[0,0,1] op_sel_hi:[1,0,0]
	v_pk_fma_f32 v[82:83], v[122:123], s[16:17], v[82:83] op_sel:[0,0,1] op_sel_hi:[1,0,0] neg_lo:[0,0,1] neg_hi:[0,0,1]
	v_mov_b32_e32 v86, v80
	v_mov_b32_e32 v87, v83
	v_pk_add_f32 v[90:91], v[86:87], v[84:85]
	v_pk_mul_f32 v[86:87], v[128:129], s[24:25] op_sel_hi:[1,0]
	v_pk_fma_f32 v[172:173], v[110:111], s[22:23], v[170:171] op_sel:[0,0,1] op_sel_hi:[1,0,0]
	v_pk_fma_f32 v[84:85], v[166:167], s[22:23], v[86:87] op_sel:[0,0,1] op_sel_hi:[1,0,0]
	v_pk_fma_f32 v[86:87], v[166:167], s[22:23], v[86:87] op_sel:[0,0,1] op_sel_hi:[1,0,0] neg_lo:[0,0,1] neg_hi:[0,0,1]
	v_mov_b32_e32 v92, v84
	v_mov_b32_e32 v93, v87
	v_pk_add_f32 v[90:91], v[92:93], v[90:91]
	ds_write2_b64 v126, v[88:89], v[90:91] offset1:1
	v_pk_mul_f32 v[90:91], v[108:109], s[20:21] op_sel_hi:[1,0]
	v_pk_fma_f32 v[170:171], v[110:111], s[22:23], v[170:171] op_sel:[0,0,1] op_sel_hi:[1,0,0] neg_lo:[0,0,1] neg_hi:[0,0,1]
	v_pk_fma_f32 v[88:89], v[104:105], s[8:9], v[90:91] op_sel:[0,0,1] op_sel_hi:[1,0,0]
	v_pk_fma_f32 v[90:91], v[104:105], s[8:9], v[90:91] op_sel:[0,0,1] op_sel_hi:[1,0,0] neg_lo:[0,0,1] neg_hi:[0,0,1]
	v_mov_b32_e32 v92, v88
	v_mov_b32_e32 v93, v91
	v_pk_add_f32 v[96:97], v[144:145], v[92:93]
	v_pk_fma_f32 v[92:93], v[110:111], s[12:13], v[94:95] op_sel:[0,0,1] op_sel_hi:[1,0,0]
	v_pk_fma_f32 v[94:95], v[110:111], s[12:13], v[94:95] op_sel:[0,0,1] op_sel_hi:[1,0,0] neg_lo:[0,0,1] neg_hi:[0,0,1]
	v_mov_b32_e32 v98, v92
	v_mov_b32_e32 v99, v95
	v_pk_add_f32 v[100:101], v[98:99], v[96:97]
	v_pk_mul_f32 v[98:99], v[116:117], s[24:25] op_sel_hi:[1,0]
	v_mov_b32_e32 v174, v172
	v_pk_fma_f32 v[96:97], v[114:115], s[22:23], v[98:99] op_sel:[0,0,1] op_sel_hi:[1,0,0]
	v_pk_fma_f32 v[98:99], v[114:115], s[22:23], v[98:99] op_sel:[0,0,1] op_sel_hi:[1,0,0] neg_lo:[0,0,1] neg_hi:[0,0,1]
	v_mov_b32_e32 v102, v96
	v_mov_b32_e32 v103, v99
	v_pk_add_f32 v[130:131], v[102:103], v[100:101]
	v_pk_mul_f32 v[102:103], v[120:121], s[34:35] op_sel_hi:[1,0]
	v_mov_b32_e32 v175, v171
	v_pk_fma_f32 v[100:101], v[118:119], s[16:17], v[102:103] op_sel:[0,0,1] op_sel_hi:[1,0,0]
	v_pk_fma_f32 v[102:103], v[118:119], s[16:17], v[102:103] op_sel:[0,0,1] op_sel_hi:[1,0,0] neg_lo:[0,0,1] neg_hi:[0,0,1]
	v_mov_b32_e32 v132, v100
	v_mov_b32_e32 v133, v103
	v_pk_add_f32 v[130:131], v[132:133], v[130:131]
	v_pk_mul_f32 v[132:133], v[124:125], s[26:27] op_sel_hi:[1,0]
	v_pk_mul_f32 v[192:193], v[112:113], s[34:35] op_sel_hi:[1,0]
	v_pk_fma_f32 v[136:137], v[122:123], s[10:11], v[132:133] op_sel:[0,0,1] op_sel_hi:[1,0,0]
	v_pk_fma_f32 v[138:139], v[122:123], s[10:11], v[132:133] op_sel:[0,0,1] op_sel_hi:[1,0,0] neg_lo:[0,0,1] neg_hi:[0,0,1]
	v_mov_b32_e32 v132, v136
	v_mov_b32_e32 v133, v139
	v_pk_add_f32 v[130:131], v[132:133], v[130:131]
	v_pk_mul_f32 v[132:133], v[128:129], s[30:31] op_sel_hi:[1,0]
	v_pk_fma_f32 v[194:195], v[110:111], s[16:17], v[192:193] op_sel:[0,0,1] op_sel_hi:[1,0,0]
	v_pk_fma_f32 v[140:141], v[166:167], s[0:1], v[132:133] op_sel:[0,0,1] op_sel_hi:[1,0,0]
	v_pk_fma_f32 v[142:143], v[166:167], s[0:1], v[132:133] op_sel:[0,0,1] op_sel_hi:[1,0,0] neg_lo:[0,0,1] neg_hi:[0,0,1]
	v_mov_b32_e32 v132, v140
	v_mov_b32_e32 v133, v143
	v_pk_add_f32 v[130:131], v[132:133], v[130:131]
	v_pk_mul_f32 v[132:133], v[108:109], s[28:29] op_sel_hi:[1,0]
	v_pk_fma_f32 v[192:193], v[110:111], s[16:17], v[192:193] op_sel:[0,0,1] op_sel_hi:[1,0,0] neg_lo:[0,0,1] neg_hi:[0,0,1]
	v_pk_fma_f32 v[134:135], v[104:105], s[10:11], v[132:133] op_sel:[0,0,1] op_sel_hi:[1,0,0]
	v_pk_fma_f32 v[132:133], v[104:105], s[10:11], v[132:133] op_sel:[0,0,1] op_sel_hi:[1,0,0] neg_lo:[0,0,1] neg_hi:[0,0,1]
	v_mov_b32_e32 v168, v134
	v_mov_b32_e32 v169, v133
	v_pk_add_f32 v[168:169], v[144:145], v[168:169]
	v_mov_b32_e32 v196, v194
	v_pk_add_f32 v[168:169], v[174:175], v[168:169]
	v_pk_mul_f32 v[174:175], v[116:117], s[42:43] op_sel_hi:[1,0]
	v_mov_b32_e32 v197, v193
	v_pk_fma_f32 v[176:177], v[114:115], s[12:13], v[174:175] op_sel:[0,0,1] op_sel_hi:[1,0,0]
	v_pk_fma_f32 v[174:175], v[114:115], s[12:13], v[174:175] op_sel:[0,0,1] op_sel_hi:[1,0,0] neg_lo:[0,0,1] neg_hi:[0,0,1]
	v_mov_b32_e32 v178, v176
	v_mov_b32_e32 v179, v175
	v_pk_add_f32 v[168:169], v[178:179], v[168:169]
	v_pk_mul_f32 v[178:179], v[120:121], s[30:31] op_sel_hi:[1,0]
	v_pk_mul_f32 v[218:219], v[112:113], s[26:27] op_sel_hi:[1,0]
	v_pk_fma_f32 v[180:181], v[118:119], s[0:1], v[178:179] op_sel:[0,0,1] op_sel_hi:[1,0,0]
	v_pk_fma_f32 v[178:179], v[118:119], s[0:1], v[178:179] op_sel:[0,0,1] op_sel_hi:[1,0,0] neg_lo:[0,0,1] neg_hi:[0,0,1]
	v_mov_b32_e32 v182, v180
	v_mov_b32_e32 v183, v179
	v_pk_add_f32 v[168:169], v[182:183], v[168:169]
	v_pk_mul_f32 v[182:183], v[124:125], s[20:21] op_sel_hi:[1,0]
	v_pk_fma_f32 v[220:221], v[110:111], s[10:11], v[218:219] op_sel:[0,0,1] op_sel_hi:[1,0,0]
	v_pk_fma_f32 v[184:185], v[122:123], s[8:9], v[182:183] op_sel:[0,0,1] op_sel_hi:[1,0,0]
	v_pk_fma_f32 v[182:183], v[122:123], s[8:9], v[182:183] op_sel:[0,0,1] op_sel_hi:[1,0,0] neg_lo:[0,0,1] neg_hi:[0,0,1]
	v_mov_b32_e32 v186, v184
	v_mov_b32_e32 v187, v183
	v_pk_add_f32 v[168:169], v[186:187], v[168:169]
	v_pk_mul_f32 v[186:187], v[128:129], s[18:19] op_sel_hi:[1,0]
	v_pk_fma_f32 v[218:219], v[110:111], s[10:11], v[218:219] op_sel:[0,0,1] op_sel_hi:[1,0,0] neg_lo:[0,0,1] neg_hi:[0,0,1]
	v_pk_fma_f32 v[188:189], v[166:167], s[16:17], v[186:187] op_sel:[0,0,1] op_sel_hi:[1,0,0]
	v_pk_fma_f32 v[186:187], v[166:167], s[16:17], v[186:187] op_sel:[0,0,1] op_sel_hi:[1,0,0] neg_lo:[0,0,1] neg_hi:[0,0,1]
	v_mov_b32_e32 v190, v188
	v_mov_b32_e32 v191, v187
	v_pk_add_f32 v[168:169], v[190:191], v[168:169]
	ds_write2_b64 v126, v[130:131], v[168:169] offset0:2 offset1:3
	v_pk_mul_f32 v[130:131], v[108:109], s[14:15] op_sel_hi:[1,0]
	v_mov_b32_e32 v222, v220
	v_pk_fma_f32 v[168:169], v[104:105], s[12:13], v[130:131] op_sel:[0,0,1] op_sel_hi:[1,0,0]
	v_pk_fma_f32 v[130:131], v[104:105], s[12:13], v[130:131] op_sel:[0,0,1] op_sel_hi:[1,0,0] neg_lo:[0,0,1] neg_hi:[0,0,1]
	v_mov_b32_e32 v190, v168
	v_mov_b32_e32 v191, v131
	v_pk_add_f32 v[190:191], v[144:145], v[190:191]
	v_mov_b32_e32 v223, v219
	v_pk_add_f32 v[190:191], v[196:197], v[190:191]
	v_pk_mul_f32 v[196:197], v[116:117], s[30:31] op_sel_hi:[1,0]
	v_pk_mul_f32 v[112:113], v[112:113], s[30:31] op_sel_hi:[1,0]
	v_pk_fma_f32 v[198:199], v[114:115], s[0:1], v[196:197] op_sel:[0,0,1] op_sel_hi:[1,0,0]
	v_pk_fma_f32 v[196:197], v[114:115], s[0:1], v[196:197] op_sel:[0,0,1] op_sel_hi:[1,0,0] neg_lo:[0,0,1] neg_hi:[0,0,1]
	v_mov_b32_e32 v200, v198
	v_mov_b32_e32 v201, v197
	v_pk_add_f32 v[190:191], v[200:201], v[190:191]
	v_pk_mul_f32 v[200:201], v[120:121], s[28:29] op_sel_hi:[1,0]
	v_mov_b32_e32 v131, v169
	v_pk_fma_f32 v[202:203], v[118:119], s[10:11], v[200:201] op_sel:[0,0,1] op_sel_hi:[1,0,0]
	v_pk_fma_f32 v[200:201], v[118:119], s[10:11], v[200:201] op_sel:[0,0,1] op_sel_hi:[1,0,0] neg_lo:[0,0,1] neg_hi:[0,0,1]
	v_mov_b32_e32 v204, v202
	v_mov_b32_e32 v205, v201
	v_pk_add_f32 v[190:191], v[204:205], v[190:191]
	v_pk_mul_f32 v[204:205], v[124:125], s[38:39] op_sel_hi:[1,0]
	v_mov_b32_e32 v219, v221
	;; [unrolled: 7-line block ×3, first 2 shown]
	v_pk_fma_f32 v[210:211], v[166:167], s[8:9], v[208:209] op_sel:[0,0,1] op_sel_hi:[1,0,0]
	v_pk_fma_f32 v[208:209], v[166:167], s[8:9], v[208:209] op_sel:[0,0,1] op_sel_hi:[1,0,0] neg_lo:[0,0,1] neg_hi:[0,0,1]
	v_mov_b32_e32 v212, v210
	v_mov_b32_e32 v213, v209
	v_pk_add_f32 v[190:191], v[212:213], v[190:191]
	v_pk_mul_f32 v[212:213], v[108:109], s[18:19] op_sel_hi:[1,0]
	v_pk_mul_f32 v[108:109], v[108:109], s[24:25] op_sel_hi:[1,0]
	v_pk_fma_f32 v[214:215], v[104:105], s[16:17], v[212:213] op_sel:[0,0,1] op_sel_hi:[1,0,0]
	v_pk_fma_f32 v[212:213], v[104:105], s[16:17], v[212:213] op_sel:[0,0,1] op_sel_hi:[1,0,0] neg_lo:[0,0,1] neg_hi:[0,0,1]
	v_mov_b32_e32 v216, v214
	v_mov_b32_e32 v217, v213
	v_pk_add_f32 v[216:217], v[144:145], v[216:217]
	v_mov_b32_e32 v213, v215
	v_pk_add_f32 v[216:217], v[222:223], v[216:217]
	v_pk_mul_f32 v[222:223], v[116:117], s[20:21] op_sel_hi:[1,0]
	v_mov_b32_e32 v197, v199
	v_pk_fma_f32 v[224:225], v[114:115], s[8:9], v[222:223] op_sel:[0,0,1] op_sel_hi:[1,0,0]
	v_pk_fma_f32 v[222:223], v[114:115], s[8:9], v[222:223] op_sel:[0,0,1] op_sel_hi:[1,0,0] neg_lo:[0,0,1] neg_hi:[0,0,1]
	v_mov_b32_e32 v226, v224
	v_mov_b32_e32 v227, v223
	v_pk_add_f32 v[216:217], v[226:227], v[216:217]
	v_pk_mul_f32 v[226:227], v[120:121], s[38:39] op_sel_hi:[1,0]
	v_mov_b32_e32 v223, v225
	v_pk_fma_f32 v[228:229], v[118:119], s[22:23], v[226:227] op_sel:[0,0,1] op_sel_hi:[1,0,0]
	v_pk_fma_f32 v[226:227], v[118:119], s[22:23], v[226:227] op_sel:[0,0,1] op_sel_hi:[1,0,0] neg_lo:[0,0,1] neg_hi:[0,0,1]
	v_mov_b32_e32 v230, v228
	;; [unrolled: 7-line block ×4, first 2 shown]
	v_mov_b32_e32 v239, v235
	v_pk_add_f32 v[216:217], v[238:239], v[216:217]
	ds_write2_b64 v126, v[190:191], v[216:217] offset0:4 offset1:5
	v_pk_fma_f32 v[190:191], v[104:105], s[22:23], v[108:109] op_sel:[0,0,1] op_sel_hi:[1,0,0]
	v_pk_fma_f32 v[104:105], v[104:105], s[22:23], v[108:109] op_sel:[0,0,1] op_sel_hi:[1,0,0] neg_lo:[0,0,1] neg_hi:[0,0,1]
	v_mov_b32_e32 v108, v190
	v_mov_b32_e32 v109, v105
	v_pk_fma_f32 v[216:217], v[110:111], s[0:1], v[112:113] op_sel:[0,0,1] op_sel_hi:[1,0,0]
	v_pk_fma_f32 v[110:111], v[110:111], s[0:1], v[112:113] op_sel:[0,0,1] op_sel_hi:[1,0,0] neg_lo:[0,0,1] neg_hi:[0,0,1]
	v_pk_add_f32 v[108:109], v[144:145], v[108:109]
	v_mov_b32_e32 v112, v216
	v_mov_b32_e32 v113, v111
	v_pk_add_f32 v[108:109], v[112:113], v[108:109]
	v_pk_mul_f32 v[112:113], v[116:117], s[18:19] op_sel_hi:[1,0]
	v_mov_b32_e32 v105, v191
	v_pk_fma_f32 v[116:117], v[114:115], s[16:17], v[112:113] op_sel:[0,0,1] op_sel_hi:[1,0,0]
	v_pk_fma_f32 v[112:113], v[114:115], s[16:17], v[112:113] op_sel:[0,0,1] op_sel_hi:[1,0,0] neg_lo:[0,0,1] neg_hi:[0,0,1]
	v_mov_b32_e32 v114, v116
	v_mov_b32_e32 v115, v113
	v_pk_add_f32 v[108:109], v[114:115], v[108:109]
	v_pk_mul_f32 v[114:115], v[120:121], s[36:37] op_sel_hi:[1,0]
	v_pk_add_f32 v[104:105], v[144:145], v[104:105]
	v_pk_fma_f32 v[120:121], v[118:119], s[8:9], v[114:115] op_sel:[0,0,1] op_sel_hi:[1,0,0]
	v_pk_fma_f32 v[114:115], v[118:119], s[8:9], v[114:115] op_sel:[0,0,1] op_sel_hi:[1,0,0] neg_lo:[0,0,1] neg_hi:[0,0,1]
	v_mov_b32_e32 v118, v120
	v_mov_b32_e32 v119, v115
	v_pk_add_f32 v[108:109], v[118:119], v[108:109]
	v_pk_mul_f32 v[118:119], v[124:125], s[14:15] op_sel_hi:[1,0]
	v_mov_b32_e32 v111, v217
	v_pk_fma_f32 v[124:125], v[122:123], s[12:13], v[118:119] op_sel:[0,0,1] op_sel_hi:[1,0,0]
	v_pk_fma_f32 v[118:119], v[122:123], s[12:13], v[118:119] op_sel:[0,0,1] op_sel_hi:[1,0,0] neg_lo:[0,0,1] neg_hi:[0,0,1]
	v_mov_b32_e32 v122, v124
	v_mov_b32_e32 v123, v119
	v_pk_add_f32 v[104:105], v[110:111], v[104:105]
	v_mov_b32_e32 v113, v117
	v_pk_add_f32 v[108:109], v[122:123], v[108:109]
	v_pk_mul_f32 v[122:123], v[128:129], s[26:27] op_sel_hi:[1,0]
	v_pk_add_f32 v[104:105], v[112:113], v[104:105]
	v_mov_b32_e32 v115, v121
	v_pk_fma_f32 v[128:129], v[166:167], s[10:11], v[122:123] op_sel:[0,0,1] op_sel_hi:[1,0,0]
	v_pk_fma_f32 v[122:123], v[166:167], s[10:11], v[122:123] op_sel:[0,0,1] op_sel_hi:[1,0,0] neg_lo:[0,0,1] neg_hi:[0,0,1]
	v_pk_add_f32 v[104:105], v[114:115], v[104:105]
	v_mov_b32_e32 v119, v125
	v_mov_b32_e32 v166, v128
	;; [unrolled: 1-line block ×3, first 2 shown]
	v_pk_add_f32 v[104:105], v[118:119], v[104:105]
	v_mov_b32_e32 v123, v129
	v_pk_add_f32 v[108:109], v[166:167], v[108:109]
	v_pk_add_f32 v[104:105], v[122:123], v[104:105]
	ds_write2_b64 v126, v[108:109], v[104:105] offset0:6 offset1:7
	v_pk_add_f32 v[104:105], v[144:145], v[212:213]
	v_pk_add_f32 v[108:109], v[144:145], v[130:131]
	v_pk_add_f32 v[104:105], v[218:219], v[104:105]
	v_pk_add_f32 v[108:109], v[192:193], v[108:109]
	v_pk_add_f32 v[104:105], v[222:223], v[104:105]
	v_pk_add_f32 v[108:109], v[196:197], v[108:109]
	v_pk_add_f32 v[104:105], v[226:227], v[104:105]
	v_mov_b32_e32 v231, v233
	v_pk_add_f32 v[108:109], v[200:201], v[108:109]
	v_mov_b32_e32 v205, v207
	v_pk_add_f32 v[104:105], v[230:231], v[104:105]
	;; [unrolled: 2-line block ×4, first 2 shown]
	v_pk_add_f32 v[108:109], v[208:209], v[108:109]
	v_mov_b32_e32 v133, v135
	v_mov_b32_e32 v91, v89
	;; [unrolled: 1-line block ×3, first 2 shown]
	ds_write2_b64 v126, v[104:105], v[108:109] offset0:8 offset1:9
	v_pk_add_f32 v[104:105], v[144:145], v[132:133]
	v_mov_b32_e32 v171, v173
	v_pk_add_f32 v[88:89], v[144:145], v[90:91]
	v_mov_b32_e32 v95, v93
	;; [unrolled: 2-line block ×15, first 2 shown]
	v_pk_add_f32 v[104:105], v[186:187], v[104:105]
	v_pk_add_f32 v[88:89], v[142:143], v[88:89]
	;; [unrolled: 1-line block ×3, first 2 shown]
	ds_write2_b64 v126, v[104:105], v[88:89] offset0:10 offset1:11
	ds_write_b64 v126, v[2:3] offset:96
.LBB0_13:
	s_or_b64 exec, exec, s[44:45]
	s_waitcnt lgkmcnt(0)
	; wave barrier
	s_waitcnt lgkmcnt(0)
	ds_read2_b64 v[72:75], v127 offset0:78 offset1:91
	ds_read2_b64 v[76:79], v127 offset1:13
	ds_read2_b64 v[80:83], v127 offset0:182 offset1:195
	v_accvgpr_read_b32 v114, a20
	v_mad_u64_u32 v[66:67], s[0:1], s6, v114, 0
	s_waitcnt lgkmcnt(2)
	v_pk_mul_f32 v[2:3], v[8:9], v[74:75]
	s_mov_b32 s0, 0x3f5db3d7
	v_pk_fma_f32 v[68:69], v[70:71], v[74:75], v[2:3] op_sel:[0,0,1] op_sel_hi:[1,1,0]
	v_pk_fma_f32 v[2:3], v[70:71], v[74:75], v[2:3] op_sel:[0,0,1] op_sel_hi:[1,1,0] neg_lo:[0,0,1] neg_hi:[0,0,1]
	s_mov_b32 s8, 0x3f08b237
	v_mov_b32_e32 v69, v3
	s_waitcnt lgkmcnt(0)
	v_pk_mul_f32 v[2:3], v[10:11], v[80:81]
	s_mov_b32 s14, 0x3d64c772
	v_pk_fma_f32 v[74:75], v[0:1], v[80:81], v[2:3] op_sel:[0,0,1] op_sel_hi:[1,1,0]
	v_pk_fma_f32 v[2:3], v[0:1], v[80:81], v[2:3] op_sel:[0,0,1] op_sel_hi:[1,1,0] neg_lo:[0,0,1] neg_hi:[0,0,1]
	s_mov_b32 s9, 0xbeae86e6
	v_mov_b32_e32 v75, v3
	v_pk_add_f32 v[2:3], v[76:77], v[68:69]
	v_pk_add_f32 v[80:81], v[68:69], v[74:75]
	;; [unrolled: 1-line block ×3, first 2 shown]
	v_pk_fma_f32 v[80:81], v[80:81], 0.5, v[76:77] op_sel_hi:[1,0,1] neg_lo:[1,0,0] neg_hi:[1,0,0]
	v_pk_add_f32 v[68:69], v[68:69], v[74:75] neg_lo:[0,1] neg_hi:[0,1]
	ds_read2_b64 v[74:77], v127 offset0:156 offset1:169
	v_pk_mul_f32 v[68:69], v[68:69], s[0:1] op_sel_hi:[1,0]
	s_mov_b32 s15, 0x3f4a47b2
	v_pk_add_f32 v[88:89], v[80:81], v[68:69] op_sel:[0,1] op_sel_hi:[1,0] neg_lo:[0,1] neg_hi:[0,1]
	v_pk_add_f32 v[68:69], v[80:81], v[68:69] op_sel:[0,1] op_sel_hi:[1,0]
	ds_read_b64 v[80:81], v127 offset:2080
	s_waitcnt lgkmcnt(1)
	v_pk_mul_f32 v[36:37], v[36:37], v[76:77]
	v_pk_mul_f32 v[28:29], v[28:29], v[74:75]
	v_pk_fma_f32 v[90:91], v[164:165], v[76:77], v[36:37] op_sel:[0,0,1] op_sel_hi:[1,1,0]
	v_pk_fma_f32 v[36:37], v[164:165], v[76:77], v[36:37] op_sel:[0,0,1] op_sel_hi:[1,1,0] neg_lo:[0,0,1] neg_hi:[0,0,1]
	v_pk_fma_f32 v[96:97], v[160:161], v[74:75], v[28:29] op_sel:[0,0,1] op_sel_hi:[1,1,0]
	v_mov_b32_e32 v91, v37
	s_waitcnt lgkmcnt(0)
	v_pk_mul_f32 v[36:37], v[38:39], v[80:81]
	v_pk_fma_f32 v[28:29], v[160:161], v[74:75], v[28:29] op_sel:[0,0,1] op_sel_hi:[1,1,0] neg_lo:[0,0,1] neg_hi:[0,0,1]
	v_pk_fma_f32 v[92:93], v[162:163], v[80:81], v[36:37] op_sel:[0,0,1] op_sel_hi:[1,1,0]
	v_pk_fma_f32 v[36:37], v[162:163], v[80:81], v[36:37] op_sel:[0,0,1] op_sel_hi:[1,1,0] neg_lo:[0,0,1] neg_hi:[0,0,1]
	v_mov_b32_e32 v97, v29
	v_mov_b32_e32 v93, v37
	v_pk_add_f32 v[36:37], v[90:91], v[92:93]
	v_pk_add_f32 v[38:39], v[90:91], v[92:93] neg_lo:[0,1] neg_hi:[0,1]
	v_pk_fma_f32 v[36:37], v[36:37], 0.5, v[72:73] op_sel_hi:[1,0,1] neg_lo:[1,0,0] neg_hi:[1,0,0]
	v_pk_mul_f32 v[38:39], v[38:39], s[0:1] op_sel_hi:[1,0]
	v_mov_b32_e32 v64, s2
	v_pk_add_f32 v[80:81], v[36:37], v[38:39] op_sel:[0,1] op_sel_hi:[1,0] neg_lo:[0,1] neg_hi:[0,1]
	v_pk_add_f32 v[94:95], v[36:37], v[38:39] op_sel:[0,1] op_sel_hi:[1,0]
	ds_read2_b64 v[36:39], v127 offset0:52 offset1:65
	ds_read2_b64 v[84:87], v127 offset0:234 offset1:247
	v_mov_b32_e32 v65, s3
	s_mov_b32 s2, s9
	s_mov_b32 s3, s8
	;; [unrolled: 1-line block ×3, first 2 shown]
	s_waitcnt lgkmcnt(0)
	v_pk_mul_f32 v[28:29], v[30:31], v[86:87]
	s_mov_b32 s17, s14
	v_pk_fma_f32 v[98:99], v[158:159], v[86:87], v[28:29] op_sel:[0,0,1] op_sel_hi:[1,1,0]
	v_pk_fma_f32 v[28:29], v[158:159], v[86:87], v[28:29] op_sel:[0,0,1] op_sel_hi:[1,1,0] neg_lo:[0,0,1] neg_hi:[0,0,1]
	s_mov_b32 s12, 0x3f955555
	v_mov_b32_e32 v99, v29
	v_pk_add_f32 v[28:29], v[96:97], v[98:99]
	v_pk_add_f32 v[76:77], v[96:97], v[98:99] neg_lo:[0,1] neg_hi:[0,1]
	v_pk_fma_f32 v[74:75], v[28:29], 0.5, v[38:39] op_sel_hi:[1,0,1] neg_lo:[1,0,0] neg_hi:[1,0,0]
	ds_read2_b64 v[28:31], v127 offset0:130 offset1:143
	v_pk_mul_f32 v[76:77], v[76:77], s[0:1] op_sel_hi:[1,0]
	s_mov_b32 s6, 0xbf5ff5aa
	v_pk_add_f32 v[86:87], v[74:75], v[76:77] op_sel:[0,1] op_sel_hi:[1,0]
	v_pk_add_f32 v[100:101], v[74:75], v[76:77] op_sel:[0,1] op_sel_hi:[1,0] neg_lo:[0,1] neg_hi:[0,1]
	s_waitcnt lgkmcnt(0)
	v_pk_mul_f32 v[20:21], v[20:21], v[30:31]
	v_pk_mul_f32 v[16:17], v[16:17], v[28:29]
	v_pk_fma_f32 v[102:103], v[156:157], v[30:31], v[20:21] op_sel:[0,0,1] op_sel_hi:[1,1,0]
	v_pk_fma_f32 v[20:21], v[156:157], v[30:31], v[20:21] op_sel:[0,0,1] op_sel_hi:[1,1,0] neg_lo:[0,0,1] neg_hi:[0,0,1]
	v_pk_fma_f32 v[108:109], v[152:153], v[28:29], v[16:17] op_sel:[0,0,1] op_sel_hi:[1,1,0]
	v_mov_b32_e32 v103, v21
	v_pk_mul_f32 v[20:21], v[22:23], v[84:85]
	v_pk_fma_f32 v[16:17], v[152:153], v[28:29], v[16:17] op_sel:[0,0,1] op_sel_hi:[1,1,0] neg_lo:[0,0,1] neg_hi:[0,0,1]
	v_pk_fma_f32 v[30:31], v[154:155], v[84:85], v[20:21] op_sel:[0,0,1] op_sel_hi:[1,1,0]
	v_pk_fma_f32 v[20:21], v[154:155], v[84:85], v[20:21] op_sel:[0,0,1] op_sel_hi:[1,1,0] neg_lo:[0,0,1] neg_hi:[0,0,1]
	v_mov_b32_e32 v109, v17
	v_mov_b32_e32 v31, v21
	v_pk_add_f32 v[20:21], v[102:103], v[30:31]
	v_pk_add_f32 v[22:23], v[102:103], v[30:31] neg_lo:[0,1] neg_hi:[0,1]
	v_pk_fma_f32 v[20:21], v[20:21], 0.5, v[36:37] op_sel_hi:[1,0,1] neg_lo:[1,0,0] neg_hi:[1,0,0]
	v_pk_mul_f32 v[22:23], v[22:23], s[0:1] op_sel_hi:[1,0]
	s_mov_b32 s10, 0x3f3bfb3b
	v_pk_add_f32 v[84:85], v[20:21], v[22:23] op_sel:[0,1] op_sel_hi:[1,0]
	v_pk_add_f32 v[104:105], v[20:21], v[22:23] op_sel:[0,1] op_sel_hi:[1,0] neg_lo:[0,1] neg_hi:[0,1]
	ds_read2_b64 v[20:23], v127 offset0:26 offset1:39
	ds_read2_b64 v[74:77], v127 offset0:208 offset1:221
	s_waitcnt lgkmcnt(0)
	v_pk_mul_f32 v[16:17], v[18:19], v[76:77]
	s_nop 0
	v_pk_fma_f32 v[28:29], v[150:151], v[76:77], v[16:17] op_sel:[0,0,1] op_sel_hi:[1,1,0]
	v_pk_fma_f32 v[16:17], v[150:151], v[76:77], v[16:17] op_sel:[0,0,1] op_sel_hi:[1,1,0] neg_lo:[0,0,1] neg_hi:[0,0,1]
	s_nop 0
	v_mov_b32_e32 v29, v17
	v_pk_add_f32 v[16:17], v[108:109], v[28:29]
	v_pk_add_f32 v[110:111], v[108:109], v[28:29] neg_lo:[0,1] neg_hi:[0,1]
	v_pk_fma_f32 v[76:77], v[16:17], 0.5, v[22:23] op_sel_hi:[1,0,1] neg_lo:[1,0,0] neg_hi:[1,0,0]
	ds_read2_b64 v[16:19], v127 offset0:104 offset1:117
	v_pk_mul_f32 v[110:111], v[110:111], s[0:1] op_sel_hi:[1,0]
	s_waitcnt lgkmcnt(0)
	v_pk_add_f32 v[112:113], v[76:77], v[110:111] op_sel:[0,1] op_sel_hi:[1,0]
	v_pk_add_f32 v[76:77], v[76:77], v[110:111] op_sel:[0,1] op_sel_hi:[1,0] neg_lo:[0,1] neg_hi:[0,1]
	v_pk_mul_f32 v[40:41], v[40:41], v[18:19]
	v_pk_mul_f32 v[8:9], v[8:9], v[16:17]
	v_pk_fma_f32 v[110:111], v[148:149], v[18:19], v[40:41] op_sel:[0,0,1] op_sel_hi:[1,1,0]
	v_pk_fma_f32 v[18:19], v[148:149], v[18:19], v[40:41] op_sel:[0,0,1] op_sel_hi:[1,1,0] neg_lo:[0,0,1] neg_hi:[0,0,1]
	; wave barrier
	s_nop 0
	v_mov_b32_e32 v111, v19
	v_pk_mul_f32 v[18:19], v[42:43], v[74:75]
	s_nop 0
	v_pk_fma_f32 v[40:41], v[146:147], v[74:75], v[18:19] op_sel:[0,0,1] op_sel_hi:[1,1,0]
	v_pk_fma_f32 v[18:19], v[146:147], v[74:75], v[18:19] op_sel:[0,0,1] op_sel_hi:[1,1,0] neg_lo:[0,0,1] neg_hi:[0,0,1]
	s_nop 0
	v_mov_b32_e32 v41, v19
	v_pk_add_f32 v[18:19], v[110:111], v[40:41]
	v_pk_add_f32 v[42:43], v[110:111], v[40:41] neg_lo:[0,1] neg_hi:[0,1]
	v_pk_fma_f32 v[18:19], v[18:19], 0.5, v[20:21] op_sel_hi:[1,0,1] neg_lo:[1,0,0] neg_hi:[1,0,0]
	v_pk_mul_f32 v[42:43], v[42:43], s[0:1] op_sel_hi:[1,0]
	s_nop 0
	v_pk_add_f32 v[74:75], v[18:19], v[42:43] op_sel:[0,1] op_sel_hi:[1,0]
	v_pk_add_f32 v[18:19], v[18:19], v[42:43] op_sel:[0,1] op_sel_hi:[1,0] neg_lo:[0,1] neg_hi:[0,1]
	v_pk_fma_f32 v[42:43], v[70:71], v[16:17], v[8:9] op_sel:[0,0,1] op_sel_hi:[1,1,0]
	v_pk_fma_f32 v[8:9], v[70:71], v[16:17], v[8:9] op_sel:[0,0,1] op_sel_hi:[1,1,0] neg_lo:[0,0,1] neg_hi:[0,0,1]
	s_nop 0
	v_mov_b32_e32 v43, v9
	v_pk_mul_f32 v[8:9], v[10:11], v[82:83]
	s_nop 0
	v_pk_fma_f32 v[10:11], v[0:1], v[82:83], v[8:9] op_sel:[0,0,1] op_sel_hi:[1,1,0]
	v_pk_fma_f32 v[0:1], v[0:1], v[82:83], v[8:9] op_sel:[0,0,1] op_sel_hi:[1,1,0] neg_lo:[0,0,1] neg_hi:[0,0,1]
	s_nop 0
	v_mov_b32_e32 v11, v1
	v_pk_add_f32 v[0:1], v[42:43], v[10:11]
	v_pk_add_f32 v[8:9], v[42:43], v[10:11] neg_lo:[0,1] neg_hi:[0,1]
	v_pk_fma_f32 v[0:1], v[0:1], 0.5, v[78:79] op_sel_hi:[1,0,1] neg_lo:[1,0,0] neg_hi:[1,0,0]
	v_pk_mul_f32 v[8:9], v[8:9], s[0:1] op_sel_hi:[1,0]
	s_mov_b32 s0, 0xbee1c552
	v_pk_add_f32 v[16:17], v[0:1], v[8:9] op_sel:[0,1] op_sel_hi:[1,0]
	v_pk_add_f32 v[0:1], v[0:1], v[8:9] op_sel:[0,1] op_sel_hi:[1,0] neg_lo:[0,1] neg_hi:[0,1]
	v_mov_b32_e32 v8, v88
	v_mov_b32_e32 v9, v69
	ds_write2_b64 v127, v[2:3], v[8:9] offset1:13
	v_pk_add_f32 v[2:3], v[78:79], v[42:43]
	v_mov_b32_e32 v69, v89
	v_pk_add_f32 v[2:3], v[2:3], v[10:11]
	ds_write2_b64 v127, v[68:69], v[2:3] offset0:26 offset1:39
	v_mov_b32_e32 v2, v0
	v_mov_b32_e32 v3, v17
	v_mov_b32_e32 v17, v1
	v_pk_add_f32 v[0:1], v[20:21], v[110:111]
	ds_write2_b64 v127, v[2:3], v[16:17] offset0:52 offset1:65
	v_pk_add_f32 v[0:1], v[0:1], v[40:41]
	v_mov_b32_e32 v2, v18
	v_mov_b32_e32 v3, v75
	v_accvgpr_read_b32 v8, a44
	ds_write2_b64 v8, v[0:1], v[2:3] offset0:78 offset1:91
	v_mov_b32_e32 v75, v19
	v_pk_add_f32 v[0:1], v[22:23], v[108:109]
	ds_write_b64 v8, v[74:75] offset:832
	v_pk_add_f32 v[0:1], v[0:1], v[28:29]
	v_mov_b32_e32 v2, v76
	v_mov_b32_e32 v3, v113
	v_accvgpr_read_b32 v8, a43
	ds_write2_b64 v8, v[0:1], v[2:3] offset0:117 offset1:130
	v_mov_b32_e32 v113, v77
	v_pk_add_f32 v[0:1], v[36:37], v[102:103]
	ds_write_b64 v8, v[112:113] offset:1144
	;; [unrolled: 8-line block ×4, first 2 shown]
	v_pk_add_f32 v[0:1], v[0:1], v[92:93]
	v_mov_b32_e32 v2, v80
	v_mov_b32_e32 v3, v95
	v_accvgpr_read_b32 v8, a40
	v_mov_b32_e32 v95, v81
	ds_write2_b64 v8, v[0:1], v[2:3] offset0:234 offset1:247
	ds_write_b64 v8, v[94:95] offset:2080
	s_waitcnt lgkmcnt(0)
	; wave barrier
	s_waitcnt lgkmcnt(0)
	ds_read2_b64 v[0:3], v127 offset0:26 offset1:39
	ds_read2_b64 v[68:71], v127 offset0:78 offset1:91
	;; [unrolled: 1-line block ×7, first 2 shown]
	ds_read_b64 v[28:29], v127 offset:2080
	ds_read2_b64 v[36:39], v127 offset0:156 offset1:169
	v_mov_b32_e32 v30, v57
	s_waitcnt lgkmcnt(5)
	v_pk_mul_f32 v[82:83], v[30:31], v[18:19] op_sel:[0,1] op_sel_hi:[1,0]
	v_pk_mul_f32 v[30:31], v[56:57], v[18:19] op_sel:[0,1] op_sel_hi:[1,0]
	ds_read2_b64 v[40:43], v127 offset0:130 offset1:143
	v_mov_b32_e32 v30, v31
	v_pk_mul_f32 v[80:81], v[56:57], v[18:19]
	v_pk_fma_f32 v[56:57], v[56:57], v[18:19], v[30:31] op_sel:[0,1,0] op_sel_hi:[1,0,1] neg_lo:[0,0,1] neg_hi:[0,0,1]
	v_mov_b32_e32 v18, v59
	s_waitcnt lgkmcnt(1)
	v_pk_mul_f32 v[86:87], v[18:19], v[36:37] op_sel:[0,1] op_sel_hi:[1,0]
	v_pk_mul_f32 v[18:19], v[58:59], v[36:37] op_sel:[0,1] op_sel_hi:[1,0]
	v_pk_mul_f32 v[84:85], v[58:59], v[36:37]
	v_mov_b32_e32 v18, v19
	v_pk_fma_f32 v[58:59], v[58:59], v[36:37], v[18:19] op_sel:[0,1,0] op_sel_hi:[1,0,1] neg_lo:[0,0,1] neg_hi:[0,0,1]
	v_mov_b32_e32 v18, v61
	s_waitcnt lgkmcnt(0)
	v_pk_mul_f32 v[90:91], v[18:19], v[40:41] op_sel:[0,1] op_sel_hi:[1,0]
	v_pk_mul_f32 v[18:19], v[60:61], v[40:41] op_sel:[0,1] op_sel_hi:[1,0]
	v_pk_mul_f32 v[88:89], v[60:61], v[40:41]
	v_mov_b32_e32 v18, v19
	v_pk_fma_f32 v[60:61], v[60:61], v[40:41], v[18:19] op_sel:[0,1,0] op_sel_hi:[1,0,1] neg_lo:[0,0,1] neg_hi:[0,0,1]
	v_mov_b32_e32 v18, v63
	v_pk_mul_f32 v[94:95], v[18:19], v[38:39] op_sel:[0,1] op_sel_hi:[1,0]
	v_pk_mul_f32 v[18:19], v[62:63], v[38:39] op_sel:[0,1] op_sel_hi:[1,0]
	v_pk_mul_f32 v[92:93], v[62:63], v[38:39]
	v_mov_b32_e32 v18, v19
	v_pk_fma_f32 v[62:63], v[62:63], v[38:39], v[18:19] op_sel:[0,1,0] op_sel_hi:[1,0,1] neg_lo:[0,0,1] neg_hi:[0,0,1]
	v_mov_b32_e32 v18, v53
	v_pk_mul_f32 v[38:39], v[18:19], v[42:43] op_sel:[0,1] op_sel_hi:[1,0]
	v_pk_mul_f32 v[18:19], v[52:53], v[42:43] op_sel:[0,1] op_sel_hi:[1,0]
	v_mov_b32_e32 v30, v55
	v_mov_b32_e32 v18, v19
	v_pk_mul_f32 v[36:37], v[52:53], v[42:43]
	v_pk_fma_f32 v[18:19], v[52:53], v[42:43], v[18:19] op_sel:[0,1,0] op_sel_hi:[1,0,1] neg_lo:[0,0,1] neg_hi:[0,0,1]
	v_pk_mul_f32 v[42:43], v[30:31], v[72:73] op_sel:[0,1] op_sel_hi:[1,0]
	v_pk_mul_f32 v[30:31], v[54:55], v[72:73] op_sel:[0,1] op_sel_hi:[1,0]
	v_pk_mul_f32 v[96:97], v[48:49], v[2:3] op_sel_hi:[1,0]
	v_mov_b32_e32 v30, v31
	v_pk_mul_f32 v[40:41], v[54:55], v[72:73]
	v_pk_fma_f32 v[30:31], v[54:55], v[72:73], v[30:31] op_sel:[0,1,0] op_sel_hi:[1,0,1] neg_lo:[0,0,1] neg_hi:[0,0,1]
	v_mov_b32_e32 v72, v3
	v_pk_fma_f32 v[2:3], v[48:49], v[2:3], v[96:97] op_sel:[0,1,1] op_sel_hi:[1,1,0]
	v_pk_fma_f32 v[72:73], v[48:49], v[72:73], v[96:97] op_sel:[0,0,1] op_sel_hi:[1,1,0] neg_lo:[0,0,1] neg_hi:[0,0,1]
	v_mov_b32_e32 v2, v69
	v_pk_mul_f32 v[48:49], v[50:51], v[68:69] op_sel_hi:[1,0]
	v_mov_b32_e32 v73, v3
	v_pk_fma_f32 v[2:3], v[50:51], v[2:3], v[48:49] op_sel:[0,0,1] op_sel_hi:[1,1,0] neg_lo:[0,0,1] neg_hi:[0,0,1]
	v_pk_fma_f32 v[48:49], v[50:51], v[68:69], v[48:49] op_sel:[0,1,1] op_sel_hi:[1,1,0]
	v_pk_mul_f32 v[50:51], v[44:45], v[74:75] op_sel_hi:[1,0]
	v_mov_b32_e32 v48, v75
	v_mov_b32_e32 v3, v49
	v_pk_fma_f32 v[48:49], v[44:45], v[48:49], v[50:51] op_sel:[0,0,1] op_sel_hi:[1,1,0] neg_lo:[0,0,1] neg_hi:[0,0,1]
	v_pk_fma_f32 v[44:45], v[44:45], v[74:75], v[50:51] op_sel:[0,1,1] op_sel_hi:[1,1,0]
	v_pk_mul_f32 v[50:51], v[46:47], v[76:77] op_sel_hi:[1,0]
	v_mov_b32_e32 v44, v77
	v_mov_b32_e32 v49, v45
	v_pk_fma_f32 v[44:45], v[46:47], v[44:45], v[50:51] op_sel:[0,0,1] op_sel_hi:[1,1,0] neg_lo:[0,0,1] neg_hi:[0,0,1]
	v_pk_fma_f32 v[46:47], v[46:47], v[76:77], v[50:51] op_sel:[0,1,1] op_sel_hi:[1,1,0]
	v_mov_b32_e32 v85, v72
	v_mov_b32_e32 v45, v47
	;; [unrolled: 1-line block ×5, first 2 shown]
	v_pk_add_f32 v[46:47], v[72:73], v[44:45]
	v_pk_add_f32 v[50:51], v[72:73], v[44:45] neg_lo:[0,1] neg_hi:[0,1]
	v_pk_add_f32 v[68:69], v[2:3], v[48:49]
	v_pk_add_f32 v[74:75], v[2:3], v[48:49] neg_lo:[0,1] neg_hi:[0,1]
	v_pk_add_f32 v[44:45], v[84:85], v[86:87]
	v_pk_add_f32 v[2:3], v[80:81], v[82:83]
	v_mov_b32_e32 v59, v44
	v_mov_b32_e32 v57, v2
	ds_read2_b64 v[52:55], v127 offset1:13
	v_pk_add_f32 v[48:49], v[58:59], v[56:57] neg_lo:[0,1] neg_hi:[0,1]
	v_mov_b32_e32 v82, v69
	v_mov_b32_e32 v83, v56
	;; [unrolled: 1-line block ×8, first 2 shown]
	v_pk_add_f32 v[56:57], v[82:83], v[56:57]
	v_pk_add_f32 v[58:59], v[2:3], v[44:45]
	v_pk_add_f32 v[72:73], v[72:73], v[76:77] neg_lo:[0,1] neg_hi:[0,1]
	v_mov_b32_e32 v76, v50
	v_mov_b32_e32 v80, v48
	;; [unrolled: 1-line block ×8, first 2 shown]
	v_pk_add_f32 v[76:77], v[76:77], v[80:81] neg_lo:[0,1] neg_hi:[0,1]
	v_pk_add_f32 v[82:83], v[44:45], v[82:83] neg_lo:[0,1] neg_hi:[0,1]
	;; [unrolled: 1-line block ×3, first 2 shown]
	v_pk_mul_f32 v[72:73], v[72:73], s[8:9]
	v_pk_mul_f32 v[80:81], v[76:77], s[2:3]
	v_pk_add_f32 v[48:49], v[48:49], v[74:75]
	v_pk_add_f32 v[56:57], v[56:57], v[58:59]
	v_pk_mul_f32 v[58:59], v[82:83], s[14:15]
	v_pk_mul_f32 v[82:83], v[84:85], s[16:17]
	v_mov_b32_e32 v2, v69
	v_mov_b32_e32 v44, v47
	v_pk_add_f32 v[48:49], v[48:49], v[50:51]
	s_waitcnt lgkmcnt(0)
	v_pk_add_f32 v[52:53], v[52:53], v[56:57]
	v_pk_fma_f32 v[84:85], v[84:85], s[16:17], v[58:59]
	v_pk_fma_f32 v[76:77], v[76:77], s[2:3], v[72:73]
	v_pk_add_f32 v[50:51], v[74:75], v[50:51] neg_lo:[0,1] neg_hi:[0,1]
	v_pk_add_f32 v[2:3], v[2:3], v[44:45] neg_lo:[0,1] neg_hi:[0,1]
	v_mov_b32_e32 v44, v82
	v_mov_b32_e32 v45, v59
	;; [unrolled: 1-line block ×6, first 2 shown]
	v_pk_fma_f32 v[56:57], v[56:57], s[12:13], v[52:53] op_sel_hi:[1,0,1] neg_lo:[1,0,0] neg_hi:[1,0,0]
	v_pk_fma_f32 v[44:45], v[2:3], s[10:11], v[44:45] op_sel_hi:[1,0,1] neg_lo:[1,0,1] neg_hi:[1,0,1]
	;; [unrolled: 1-line block ×5, first 2 shown]
	v_pk_fma_f32 v[76:77], v[48:49], s[0:1], v[76:77] op_sel_hi:[1,0,1]
	v_pk_fma_f32 v[46:47], v[48:49], s[0:1], v[46:47] op_sel_hi:[1,0,1]
	v_pk_add_f32 v[2:3], v[2:3], v[56:57]
	v_pk_fma_f32 v[48:49], v[48:49], s[0:1], v[50:51] op_sel_hi:[1,0,1]
	v_pk_add_f32 v[84:85], v[84:85], v[56:57]
	v_pk_add_f32 v[44:45], v[44:45], v[56:57]
	v_pk_add_f32 v[50:51], v[2:3], v[48:49] neg_lo:[0,1] neg_hi:[0,1]
	v_pk_mul_f32 v[56:57], v[32:33], v[20:21] op_sel_hi:[1,0]
	v_pk_add_f32 v[2:3], v[2:3], v[48:49]
	v_mov_b32_e32 v48, v50
	v_mov_b32_e32 v50, v21
	v_pk_fma_f32 v[20:21], v[32:33], v[20:21], v[56:57] op_sel:[0,1,1] op_sel_hi:[1,1,0]
	v_mov_b32_e32 v49, v3
	v_mov_b32_e32 v3, v51
	v_pk_fma_f32 v[50:51], v[32:33], v[50:51], v[56:57] op_sel:[0,0,1] op_sel_hi:[1,1,0] neg_lo:[0,0,1] neg_hi:[0,0,1]
	v_mov_b32_e32 v20, v71
	v_pk_mul_f32 v[32:33], v[34:35], v[70:71] op_sel_hi:[1,0]
	v_mov_b32_e32 v51, v21
	v_pk_fma_f32 v[20:21], v[34:35], v[20:21], v[32:33] op_sel:[0,0,1] op_sel_hi:[1,1,0] neg_lo:[0,0,1] neg_hi:[0,0,1]
	v_pk_fma_f32 v[32:33], v[34:35], v[70:71], v[32:33] op_sel:[0,1,1] op_sel_hi:[1,1,0]
	v_pk_mul_f32 v[34:35], v[24:25], v[8:9] op_sel_hi:[1,0]
	v_mov_b32_e32 v32, v9
	v_pk_fma_f32 v[8:9], v[24:25], v[8:9], v[34:35] op_sel:[0,1,1] op_sel_hi:[1,1,0]
	v_mov_b32_e32 v21, v33
	v_pk_fma_f32 v[32:33], v[24:25], v[32:33], v[34:35] op_sel:[0,0,1] op_sel_hi:[1,1,0] neg_lo:[0,0,1] neg_hi:[0,0,1]
	v_mov_b32_e32 v8, v79
	v_pk_mul_f32 v[24:25], v[26:27], v[78:79] op_sel_hi:[1,0]
	v_mov_b32_e32 v33, v9
	v_pk_fma_f32 v[8:9], v[26:27], v[8:9], v[24:25] op_sel:[0,0,1] op_sel_hi:[1,1,0] neg_lo:[0,0,1] neg_hi:[0,0,1]
	v_pk_fma_f32 v[24:25], v[26:27], v[78:79], v[24:25] op_sel:[0,1,1] op_sel_hi:[1,1,0]
	v_mov_b32_e32 v93, v50
	v_mov_b32_e32 v9, v25
	;; [unrolled: 1-line block ×5, first 2 shown]
	v_pk_add_f32 v[24:25], v[50:51], v[8:9]
	v_pk_add_f32 v[26:27], v[50:51], v[8:9] neg_lo:[0,1] neg_hi:[0,1]
	v_pk_add_f32 v[34:35], v[20:21], v[32:33]
	v_pk_add_f32 v[56:57], v[20:21], v[32:33] neg_lo:[0,1] neg_hi:[0,1]
	v_pk_add_f32 v[8:9], v[92:93], v[94:95]
	v_pk_add_f32 v[20:21], v[88:89], v[90:91]
	v_mov_b32_e32 v63, v8
	v_mov_b32_e32 v61, v20
	v_pk_add_f32 v[32:33], v[62:63], v[60:61] neg_lo:[0,1] neg_hi:[0,1]
	v_mov_b32_e32 v70, v35
	v_mov_b32_e32 v71, v60
	;; [unrolled: 1-line block ×4, first 2 shown]
	v_pk_add_f32 v[68:69], v[44:45], v[46:47]
	v_pk_add_f32 v[44:45], v[44:45], v[46:47] neg_lo:[0,1] neg_hi:[0,1]
	v_mov_b32_e32 v50, v32
	v_mov_b32_e32 v51, v27
	v_mov_b32_e32 v58, v56
	v_mov_b32_e32 v59, v33
	v_pk_add_f32 v[60:61], v[70:71], v[60:61]
	v_pk_add_f32 v[62:63], v[20:21], v[8:9]
	v_mov_b32_e32 v46, v68
	v_mov_b32_e32 v47, v45
	;; [unrolled: 1-line block ×3, first 2 shown]
	v_pk_add_f32 v[50:51], v[50:51], v[58:59] neg_lo:[0,1] neg_hi:[0,1]
	v_mov_b32_e32 v58, v26
	v_mov_b32_e32 v68, v32
	;; [unrolled: 1-line block ×8, first 2 shown]
	v_pk_add_f32 v[58:59], v[58:59], v[68:69] neg_lo:[0,1] neg_hi:[0,1]
	v_pk_add_f32 v[70:71], v[8:9], v[70:71] neg_lo:[0,1] neg_hi:[0,1]
	;; [unrolled: 1-line block ×3, first 2 shown]
	v_pk_mul_f32 v[50:51], v[50:51], s[8:9]
	v_pk_mul_f32 v[68:69], v[58:59], s[2:3]
	v_pk_add_f32 v[32:33], v[32:33], v[56:57]
	v_pk_add_f32 v[60:61], v[60:61], v[62:63]
	v_pk_mul_f32 v[62:63], v[70:71], s[14:15]
	v_pk_mul_f32 v[70:71], v[72:73], s[16:17]
	v_mov_b32_e32 v20, v35
	v_mov_b32_e32 v8, v25
	v_pk_add_f32 v[32:33], v[32:33], v[26:27]
	v_pk_add_f32 v[54:55], v[54:55], v[60:61]
	v_pk_add_f32 v[26:27], v[56:57], v[26:27] neg_lo:[0,1] neg_hi:[0,1]
	v_pk_add_f32 v[8:9], v[20:21], v[8:9] neg_lo:[0,1] neg_hi:[0,1]
	v_mov_b32_e32 v20, v70
	v_mov_b32_e32 v21, v63
	;; [unrolled: 1-line block ×4, first 2 shown]
	v_pk_fma_f32 v[60:61], v[60:61], s[12:13], v[54:55] op_sel_hi:[1,0,1] neg_lo:[1,0,0] neg_hi:[1,0,0]
	v_pk_fma_f32 v[20:21], v[8:9], s[10:11], v[20:21] op_sel_hi:[1,0,1] neg_lo:[1,0,1] neg_hi:[1,0,1]
	;; [unrolled: 1-line block ×3, first 2 shown]
	v_pk_add_f32 v[20:21], v[20:21], v[60:61]
	v_pk_fma_f32 v[24:25], v[32:33], s[0:1], v[24:25] op_sel_hi:[1,0,1]
	v_pk_fma_f32 v[72:73], v[72:73], s[16:17], v[62:63]
	v_pk_add_f32 v[34:35], v[20:21], v[24:25]
	v_pk_add_f32 v[20:21], v[20:21], v[24:25] neg_lo:[0,1] neg_hi:[0,1]
	v_pk_fma_f32 v[58:59], v[58:59], s[2:3], v[50:51]
	v_mov_b32_e32 v24, v34
	v_mov_b32_e32 v25, v21
	;; [unrolled: 1-line block ×4, first 2 shown]
	ds_write2_b64 v127, v[24:25], v[48:49] offset0:91 offset1:117
	v_pk_fma_f32 v[8:9], v[8:9], s[10:11], v[62:63] op_sel_hi:[1,0,1] neg_lo:[0,0,1] neg_hi:[0,0,1]
	v_pk_fma_f32 v[24:25], v[26:27], s[6:7], v[50:51] op_sel_hi:[1,0,1] neg_lo:[0,0,1] neg_hi:[0,0,1]
	v_pk_add_f32 v[8:9], v[8:9], v[60:61]
	v_pk_fma_f32 v[24:25], v[32:33], s[0:1], v[24:25] op_sel_hi:[1,0,1]
	v_pk_add_f32 v[86:87], v[84:85], v[76:77]
	v_pk_add_f32 v[26:27], v[8:9], v[24:25] neg_lo:[0,1] neg_hi:[0,1]
	v_pk_add_f32 v[8:9], v[8:9], v[24:25]
	v_mov_b32_e32 v24, v26
	v_mov_b32_e32 v25, v9
	;; [unrolled: 1-line block ×3, first 2 shown]
	ds_write2_b64 v127, v[24:25], v[2:3] offset0:130 offset1:156
	ds_write2_b64 v127, v[8:9], v[44:45] offset0:169 offset1:195
	v_mov_b32_e32 v2, v23
	v_pk_mul_f32 v[8:9], v[12:13], v[22:23] op_sel_hi:[1,0]
	v_pk_add_f32 v[76:77], v[84:85], v[76:77] neg_lo:[0,1] neg_hi:[0,1]
	v_pk_fma_f32 v[2:3], v[12:13], v[2:3], v[8:9] op_sel:[0,0,1] op_sel_hi:[1,1,0] neg_lo:[0,0,1] neg_hi:[0,0,1]
	v_pk_fma_f32 v[8:9], v[12:13], v[22:23], v[8:9] op_sel:[0,1,1] op_sel_hi:[1,1,0]
	v_pk_mul_f32 v[12:13], v[14:15], v[16:17] op_sel_hi:[1,0]
	v_mov_b32_e32 v8, v17
	v_mov_b32_e32 v3, v9
	v_pk_fma_f32 v[8:9], v[14:15], v[8:9], v[12:13] op_sel:[0,0,1] op_sel_hi:[1,1,0] neg_lo:[0,0,1] neg_hi:[0,0,1]
	v_pk_fma_f32 v[12:13], v[14:15], v[16:17], v[12:13] op_sel:[0,1,1] op_sel_hi:[1,1,0]
	v_pk_mul_f32 v[14:15], v[4:5], v[10:11] op_sel_hi:[1,0]
	v_mov_b32_e32 v12, v11
	v_mov_b32_e32 v9, v13
	;; [unrolled: 5-line block ×3, first 2 shown]
	v_pk_fma_f32 v[4:5], v[6:7], v[4:5], v[10:11] op_sel:[0,0,1] op_sel_hi:[1,1,0] neg_lo:[0,0,1] neg_hi:[0,0,1]
	v_pk_fma_f32 v[6:7], v[6:7], v[28:29], v[10:11] op_sel:[0,1,1] op_sel_hi:[1,1,0]
	v_mov_b32_e32 v41, v2
	v_mov_b32_e32 v5, v7
	;; [unrolled: 1-line block ×5, first 2 shown]
	v_pk_add_f32 v[6:7], v[2:3], v[4:5]
	v_pk_add_f32 v[10:11], v[2:3], v[4:5] neg_lo:[0,1] neg_hi:[0,1]
	v_pk_add_f32 v[2:3], v[40:41], v[42:43]
	v_pk_add_f32 v[4:5], v[36:37], v[38:39]
	v_pk_add_f32 v[14:15], v[8:9], v[12:13]
	v_mov_b32_e32 v31, v2
	v_mov_b32_e32 v19, v4
	;; [unrolled: 1-line block ×5, first 2 shown]
	v_pk_add_f32 v[16:17], v[8:9], v[12:13] neg_lo:[0,1] neg_hi:[0,1]
	v_pk_add_f32 v[8:9], v[30:31], v[18:19] neg_lo:[0,1] neg_hi:[0,1]
	v_mov_b32_e32 v24, v15
	v_mov_b32_e32 v25, v18
	;; [unrolled: 1-line block ×4, first 2 shown]
	ds_write2_b64 v127, v[20:21], v[76:77] offset0:208 offset1:234
	v_mov_b32_e32 v12, v8
	v_mov_b32_e32 v13, v11
	;; [unrolled: 1-line block ×4, first 2 shown]
	v_pk_add_f32 v[18:19], v[24:25], v[18:19]
	v_pk_add_f32 v[24:25], v[4:5], v[2:3]
	v_pk_add_f32 v[12:13], v[12:13], v[20:21] neg_lo:[0,1] neg_hi:[0,1]
	v_mov_b32_e32 v20, v10
	v_mov_b32_e32 v22, v8
	;; [unrolled: 1-line block ×9, first 2 shown]
	v_pk_add_f32 v[20:21], v[20:21], v[22:23] neg_lo:[0,1] neg_hi:[0,1]
	v_pk_add_f32 v[26:27], v[2:3], v[26:27] neg_lo:[0,1] neg_hi:[0,1]
	;; [unrolled: 1-line block ×3, first 2 shown]
	v_pk_mul_f32 v[12:13], v[12:13], s[8:9]
	v_pk_mul_f32 v[22:23], v[20:21], s[2:3]
	v_pk_add_f32 v[8:9], v[8:9], v[16:17]
	v_pk_add_f32 v[18:19], v[18:19], v[24:25]
	v_pk_mul_f32 v[24:25], v[26:27], s[14:15]
	v_pk_mul_f32 v[26:27], v[28:29], s[16:17]
	v_mov_b32_e32 v4, v15
	v_mov_b32_e32 v2, v7
	v_pk_add_f32 v[8:9], v[8:9], v[10:11]
	v_pk_add_f32 v[0:1], v[0:1], v[18:19]
	v_pk_add_f32 v[10:11], v[16:17], v[10:11] neg_lo:[0,1] neg_hi:[0,1]
	v_pk_add_f32 v[2:3], v[4:5], v[2:3] neg_lo:[0,1] neg_hi:[0,1]
	v_mov_b32_e32 v4, v26
	v_mov_b32_e32 v5, v25
	;; [unrolled: 1-line block ×4, first 2 shown]
	v_pk_fma_f32 v[18:19], v[18:19], s[12:13], v[0:1] op_sel_hi:[1,0,1] neg_lo:[1,0,0] neg_hi:[1,0,0]
	v_pk_fma_f32 v[28:29], v[28:29], s[16:17], v[24:25]
	v_pk_fma_f32 v[20:21], v[20:21], s[2:3], v[12:13]
	v_pk_fma_f32 v[4:5], v[2:3], s[10:11], v[4:5] op_sel_hi:[1,0,1] neg_lo:[1,0,1] neg_hi:[1,0,1]
	v_pk_fma_f32 v[6:7], v[10:11], s[6:7], v[6:7] op_sel_hi:[1,0,1] neg_lo:[1,0,1] neg_hi:[1,0,1]
	v_pk_add_f32 v[28:29], v[28:29], v[18:19]
	v_pk_fma_f32 v[20:21], v[8:9], s[0:1], v[20:21] op_sel_hi:[1,0,1]
	v_pk_add_f32 v[4:5], v[4:5], v[18:19]
	v_pk_fma_f32 v[6:7], v[8:9], s[0:1], v[6:7] op_sel_hi:[1,0,1]
	v_mov_b32_e32 v84, v86
	v_pk_add_f32 v[30:31], v[28:29], v[20:21]
	v_pk_add_f32 v[20:21], v[28:29], v[20:21] neg_lo:[0,1] neg_hi:[0,1]
	v_pk_add_f32 v[14:15], v[4:5], v[6:7]
	v_pk_add_f32 v[4:5], v[4:5], v[6:7] neg_lo:[0,1] neg_hi:[0,1]
	ds_write2_b64 v127, v[0:1], v[84:85] offset0:26 offset1:39
	v_mov_b32_e32 v0, v30
	v_mov_b32_e32 v1, v21
	v_mov_b32_e32 v6, v14
	v_mov_b32_e32 v7, v5
	v_accvgpr_read_b32 v14, a21
	v_mov_b32_e32 v25, v27
	v_mov_b32_e32 v13, v23
	ds_write2_b64 v14, v[0:1], v[6:7] offset0:39 offset1:78
	v_pk_fma_f32 v[0:1], v[2:3], s[10:11], v[24:25] op_sel_hi:[1,0,1] neg_lo:[0,0,1] neg_hi:[0,0,1]
	v_pk_fma_f32 v[2:3], v[10:11], s[6:7], v[12:13] op_sel_hi:[1,0,1] neg_lo:[0,0,1] neg_hi:[0,0,1]
	v_pk_add_f32 v[72:73], v[72:73], v[60:61]
	v_pk_fma_f32 v[58:59], v[32:33], s[0:1], v[58:59] op_sel_hi:[1,0,1]
	v_pk_add_f32 v[0:1], v[0:1], v[18:19]
	v_pk_fma_f32 v[2:3], v[8:9], s[0:1], v[2:3] op_sel_hi:[1,0,1]
	v_pk_add_f32 v[74:75], v[72:73], v[58:59]
	v_pk_add_f32 v[58:59], v[72:73], v[58:59] neg_lo:[0,1] neg_hi:[0,1]
	v_pk_add_f32 v[6:7], v[0:1], v[2:3] neg_lo:[0,1] neg_hi:[0,1]
	v_pk_add_f32 v[0:1], v[0:1], v[2:3]
	ds_write2_b64 v127, v[52:53], v[54:55] offset1:13
	v_mov_b32_e32 v52, v74
	v_mov_b32_e32 v53, v59
	;; [unrolled: 1-line block ×8, first 2 shown]
	ds_write2_b64 v127, v[52:53], v[46:47] offset0:52 offset1:78
	ds_write_b64 v127, v[58:59] offset:1976
	ds_write2_b64 v14, v[2:3], v[0:1] offset0:117 offset1:156
	ds_write2_b64 v14, v[4:5], v[20:21] offset0:195 offset1:234
	s_waitcnt lgkmcnt(0)
	; wave barrier
	s_waitcnt lgkmcnt(0)
	ds_read2_b64 v[0:3], v127 offset1:21
	v_mov_b32_e32 v4, v67
	v_accvgpr_read_b32 v6, a28
	v_mad_u64_u32 v[4:5], s[0:1], s7, v114, v[4:5]
	v_accvgpr_read_b32 v7, a29
	v_mov_b32_e32 v67, v4
	s_waitcnt lgkmcnt(0)
	v_mul_f32_e32 v4, v7, v1
	v_fmac_f32_e32 v4, v6, v0
	v_mul_f32_e32 v0, v7, v0
	s_mov_b32 s0, 0x1e01e01e
	v_fma_f32 v0, v6, v1, -v0
	v_cvt_f64_f32_e32 v[4:5], v4
	s_mov_b32 s1, 0x3f6e01e0
	v_cvt_f64_f32_e32 v[0:1], v0
	v_accvgpr_read_b32 v12, a0
	v_mul_f64 v[4:5], v[4:5], s[0:1]
	v_mul_f64 v[0:1], v[0:1], s[0:1]
	v_mad_u64_u32 v[6:7], s[2:3], s4, v12, 0
	v_cvt_f32_f64_e32 v4, v[4:5]
	v_cvt_f32_f64_e32 v5, v[0:1]
	v_mov_b32_e32 v0, v7
	v_mad_u64_u32 v[0:1], s[2:3], s5, v12, v[0:1]
	v_mov_b32_e32 v7, v0
	v_lshl_add_u64 v[0:1], v[66:67], 3, v[64:65]
	v_accvgpr_read_b32 v10, a26
	v_lshl_add_u64 v[6:7], v[6:7], 3, v[0:1]
	v_accvgpr_read_b32 v11, a27
	global_store_dwordx2 v[6:7], v[4:5], off
	v_mul_f32_e32 v4, v11, v3
	v_fmac_f32_e32 v4, v10, v2
	v_mul_f32_e32 v2, v11, v2
	v_fma_f32 v2, v10, v3, -v2
	v_cvt_f64_f32_e32 v[4:5], v4
	v_cvt_f64_f32_e32 v[2:3], v2
	v_mul_f64 v[4:5], v[4:5], s[0:1]
	v_mul_f64 v[2:3], v[2:3], s[0:1]
	v_cvt_f32_f64_e32 v8, v[4:5]
	v_cvt_f32_f64_e32 v9, v[2:3]
	ds_read2_b64 v[2:5], v127 offset0:42 offset1:63
	s_mul_i32 s2, s5, 21
	s_mul_hi_u32 s3, s4, 21
	s_add_i32 s3, s3, s2
	s_mul_i32 s2, s4, 21
	s_lshl_b64 s[2:3], s[2:3], 3
	v_accvgpr_read_b32 v10, a24
	v_lshl_add_u64 v[6:7], v[6:7], 0, s[2:3]
	v_accvgpr_read_b32 v11, a25
	global_store_dwordx2 v[6:7], v[8:9], off
	s_waitcnt lgkmcnt(0)
	v_mul_f32_e32 v8, v11, v3
	v_fmac_f32_e32 v8, v10, v2
	v_mul_f32_e32 v2, v11, v2
	v_fma_f32 v2, v10, v3, -v2
	v_cvt_f64_f32_e32 v[8:9], v8
	v_cvt_f64_f32_e32 v[2:3], v2
	v_accvgpr_read_b32 v10, a22
	v_mul_f64 v[8:9], v[8:9], s[0:1]
	v_mul_f64 v[2:3], v[2:3], s[0:1]
	v_accvgpr_read_b32 v11, a23
	v_cvt_f32_f64_e32 v8, v[8:9]
	v_cvt_f32_f64_e32 v9, v[2:3]
	v_mul_f32_e32 v2, v11, v5
	v_fmac_f32_e32 v2, v10, v4
	v_cvt_f64_f32_e32 v[2:3], v2
	v_lshl_add_u64 v[6:7], v[6:7], 0, s[2:3]
	v_mul_f64 v[2:3], v[2:3], s[0:1]
	global_store_dwordx2 v[6:7], v[8:9], off
	v_cvt_f32_f64_e32 v8, v[2:3]
	v_mul_f32_e32 v2, v11, v4
	v_fma_f32 v2, v10, v5, -v2
	v_cvt_f64_f32_e32 v[10:11], v2
	ds_read2_b64 v[2:5], v127 offset0:84 offset1:105
	v_mul_f64 v[10:11], v[10:11], s[0:1]
	v_cvt_f32_f64_e32 v9, v[10:11]
	v_accvgpr_read_b32 v10, a18
	v_lshl_add_u64 v[6:7], v[6:7], 0, s[2:3]
	v_accvgpr_read_b32 v11, a19
	global_store_dwordx2 v[6:7], v[8:9], off
	s_waitcnt lgkmcnt(0)
	v_mul_f32_e32 v8, v11, v3
	v_fmac_f32_e32 v8, v10, v2
	v_mul_f32_e32 v2, v11, v2
	v_fma_f32 v2, v10, v3, -v2
	v_cvt_f64_f32_e32 v[8:9], v8
	v_cvt_f64_f32_e32 v[2:3], v2
	v_accvgpr_read_b32 v10, a16
	v_mul_f64 v[8:9], v[8:9], s[0:1]
	v_mul_f64 v[2:3], v[2:3], s[0:1]
	v_accvgpr_read_b32 v11, a17
	v_cvt_f32_f64_e32 v8, v[8:9]
	v_cvt_f32_f64_e32 v9, v[2:3]
	v_mul_f32_e32 v2, v11, v5
	v_fmac_f32_e32 v2, v10, v4
	v_cvt_f64_f32_e32 v[2:3], v2
	v_lshl_add_u64 v[6:7], v[6:7], 0, s[2:3]
	v_mul_f64 v[2:3], v[2:3], s[0:1]
	global_store_dwordx2 v[6:7], v[8:9], off
	v_cvt_f32_f64_e32 v8, v[2:3]
	v_mul_f32_e32 v2, v11, v4
	v_fma_f32 v2, v10, v5, -v2
	v_cvt_f64_f32_e32 v[10:11], v2
	ds_read2_b64 v[2:5], v127 offset0:126 offset1:147
	v_mul_f64 v[10:11], v[10:11], s[0:1]
	v_cvt_f32_f64_e32 v9, v[10:11]
	;; [unrolled: 30-line block ×3, first 2 shown]
	v_accvgpr_read_b32 v10, a10
	v_lshl_add_u64 v[6:7], v[6:7], 0, s[2:3]
	v_accvgpr_read_b32 v11, a11
	global_store_dwordx2 v[6:7], v[8:9], off
	s_waitcnt lgkmcnt(0)
	v_mul_f32_e32 v8, v11, v3
	v_fmac_f32_e32 v8, v10, v2
	v_mul_f32_e32 v2, v11, v2
	v_fma_f32 v2, v10, v3, -v2
	v_cvt_f64_f32_e32 v[8:9], v8
	v_cvt_f64_f32_e32 v[2:3], v2
	v_mul_f64 v[8:9], v[8:9], s[0:1]
	v_mul_f64 v[2:3], v[2:3], s[0:1]
	v_accvgpr_read_b32 v11, a9
	v_cvt_f32_f64_e32 v8, v[8:9]
	v_cvt_f32_f64_e32 v9, v[2:3]
	v_accvgpr_read_b32 v10, a8
	v_mul_f32_e32 v2, v11, v5
	v_fmac_f32_e32 v2, v10, v4
	v_cvt_f64_f32_e32 v[2:3], v2
	v_lshl_add_u64 v[6:7], v[6:7], 0, s[2:3]
	v_mul_f64 v[2:3], v[2:3], s[0:1]
	global_store_dwordx2 v[6:7], v[8:9], off
	v_cvt_f32_f64_e32 v8, v[2:3]
	v_mul_f32_e32 v2, v11, v4
	v_fma_f32 v2, v10, v5, -v2
	v_cvt_f64_f32_e32 v[10:11], v2
	ds_read2_b64 v[2:5], v127 offset0:210 offset1:231
	v_mul_f64 v[10:11], v[10:11], s[0:1]
	v_cvt_f32_f64_e32 v9, v[10:11]
	v_lshl_add_u64 v[6:7], v[6:7], 0, s[2:3]
	v_accvgpr_read_b32 v11, a7
	global_store_dwordx2 v[6:7], v[8:9], off
	v_accvgpr_read_b32 v10, a6
	s_waitcnt lgkmcnt(0)
	v_mul_f32_e32 v8, v11, v3
	v_fmac_f32_e32 v8, v10, v2
	v_mul_f32_e32 v2, v11, v2
	v_fma_f32 v2, v10, v3, -v2
	v_cvt_f64_f32_e32 v[8:9], v8
	v_cvt_f64_f32_e32 v[2:3], v2
	v_mul_f64 v[8:9], v[8:9], s[0:1]
	v_mul_f64 v[2:3], v[2:3], s[0:1]
	v_cvt_f32_f64_e32 v8, v[8:9]
	v_cvt_f32_f64_e32 v9, v[2:3]
	v_lshl_add_u64 v[2:3], v[6:7], 0, s[2:3]
	global_store_dwordx2 v[2:3], v[8:9], off
	v_accvgpr_read_b32 v9, a5
	v_accvgpr_read_b32 v8, a4
	v_mul_f32_e32 v6, v9, v5
	v_fmac_f32_e32 v6, v8, v4
	v_mul_f32_e32 v4, v9, v4
	v_fma_f32 v4, v8, v5, -v4
	ds_read_b64 v[8:9], v127 offset:2016
	v_cvt_f64_f32_e32 v[6:7], v6
	v_cvt_f64_f32_e32 v[4:5], v4
	v_mul_f64 v[6:7], v[6:7], s[0:1]
	v_mul_f64 v[4:5], v[4:5], s[0:1]
	v_cvt_f32_f64_e32 v6, v[6:7]
	v_cvt_f32_f64_e32 v7, v[4:5]
	v_lshl_add_u64 v[2:3], v[2:3], 0, s[2:3]
	global_store_dwordx2 v[2:3], v[6:7], off
	v_accvgpr_read_b32 v7, a3
	v_accvgpr_read_b32 v6, a2
	s_waitcnt lgkmcnt(0)
	v_mul_f32_e32 v4, v7, v9
	v_fmac_f32_e32 v4, v6, v8
	v_cvt_f64_f32_e32 v[4:5], v4
	v_mul_f64 v[4:5], v[4:5], s[0:1]
	v_cvt_f32_f64_e32 v4, v[4:5]
	v_mul_f32_e32 v5, v7, v8
	v_fma_f32 v5, v6, v9, -v5
	v_cvt_f64_f32_e32 v[6:7], v5
	v_mul_f64 v[6:7], v[6:7], s[0:1]
	v_cvt_f32_f64_e32 v5, v[6:7]
	v_lshl_add_u64 v[2:3], v[2:3], 0, s[2:3]
	global_store_dwordx2 v[2:3], v[4:5], off
	s_and_b64 exec, exec, vcc
	s_cbranch_execz .LBB0_15
; %bb.14:
	global_load_dwordx2 v[8:9], v[106:107], off offset:104
	ds_read2_b64 v[4:7], v127 offset0:13 offset1:34
	v_mov_b32_e32 v10, 0xfffff888
	v_mad_u64_u32 v[2:3], s[6:7], s4, v10, v[2:3]
	s_mul_i32 s8, s5, 0xfffff888
	s_sub_i32 s6, s8, s4
	v_add_u32_e32 v3, s6, v3
	v_or_b32_e32 v11, 0xa0, v12
	s_waitcnt vmcnt(0) lgkmcnt(0)
	v_mul_f32_e32 v10, v5, v9
	v_mul_f32_e32 v9, v4, v9
	v_fmac_f32_e32 v10, v4, v8
	v_fma_f32 v8, v8, v5, -v9
	v_cvt_f64_f32_e32 v[4:5], v10
	v_cvt_f64_f32_e32 v[8:9], v8
	v_mul_f64 v[4:5], v[4:5], s[0:1]
	v_mul_f64 v[8:9], v[8:9], s[0:1]
	v_cvt_f32_f64_e32 v4, v[4:5]
	v_cvt_f32_f64_e32 v5, v[8:9]
	global_store_dwordx2 v[2:3], v[4:5], off
	global_load_dwordx2 v[4:5], v[106:107], off offset:272
	v_lshl_add_u64 v[8:9], v[2:3], 0, s[2:3]
	s_waitcnt vmcnt(0)
	v_mul_f32_e32 v2, v7, v5
	v_mul_f32_e32 v3, v6, v5
	v_fmac_f32_e32 v2, v6, v4
	v_fma_f32 v4, v4, v7, -v3
	v_cvt_f64_f32_e32 v[2:3], v2
	v_cvt_f64_f32_e32 v[4:5], v4
	v_mul_f64 v[2:3], v[2:3], s[0:1]
	v_mul_f64 v[4:5], v[4:5], s[0:1]
	v_cvt_f32_f64_e32 v2, v[2:3]
	v_cvt_f32_f64_e32 v3, v[4:5]
	global_store_dwordx2 v[8:9], v[2:3], off
	global_load_dwordx2 v[6:7], v[106:107], off offset:440
	ds_read2_b64 v[2:5], v127 offset0:55 offset1:76
	v_lshl_add_u64 v[8:9], v[8:9], 0, s[2:3]
	s_waitcnt vmcnt(0) lgkmcnt(0)
	v_mul_f32_e32 v10, v3, v7
	v_mul_f32_e32 v7, v2, v7
	v_fmac_f32_e32 v10, v2, v6
	v_fma_f32 v6, v6, v3, -v7
	v_cvt_f64_f32_e32 v[2:3], v10
	v_cvt_f64_f32_e32 v[6:7], v6
	v_mul_f64 v[2:3], v[2:3], s[0:1]
	v_mul_f64 v[6:7], v[6:7], s[0:1]
	v_cvt_f32_f64_e32 v2, v[2:3]
	v_cvt_f32_f64_e32 v3, v[6:7]
	global_store_dwordx2 v[8:9], v[2:3], off
	global_load_dwordx2 v[2:3], v[106:107], off offset:608
	v_lshl_add_u64 v[6:7], v[8:9], 0, s[2:3]
	s_waitcnt vmcnt(0)
	v_mul_f32_e32 v8, v5, v3
	v_mul_f32_e32 v3, v4, v3
	v_fmac_f32_e32 v8, v4, v2
	v_fma_f32 v4, v2, v5, -v3
	v_cvt_f64_f32_e32 v[2:3], v8
	v_cvt_f64_f32_e32 v[4:5], v4
	v_mul_f64 v[2:3], v[2:3], s[0:1]
	v_mul_f64 v[4:5], v[4:5], s[0:1]
	v_cvt_f32_f64_e32 v2, v[2:3]
	v_cvt_f32_f64_e32 v3, v[4:5]
	global_store_dwordx2 v[6:7], v[2:3], off
	global_load_dwordx2 v[8:9], v[106:107], off offset:776
	ds_read2_b64 v[2:5], v127 offset0:97 offset1:118
	v_lshl_add_u64 v[6:7], v[6:7], 0, s[2:3]
	;; [unrolled: 29-line block ×3, first 2 shown]
	s_waitcnt vmcnt(0) lgkmcnt(0)
	v_mul_f32_e32 v10, v3, v9
	v_mul_f32_e32 v9, v2, v9
	v_fmac_f32_e32 v10, v2, v8
	v_fma_f32 v8, v8, v3, -v9
	v_cvt_f64_f32_e32 v[2:3], v10
	v_cvt_f64_f32_e32 v[8:9], v8
	v_mul_f64 v[2:3], v[2:3], s[0:1]
	v_mul_f64 v[8:9], v[8:9], s[0:1]
	v_cvt_f32_f64_e32 v2, v[2:3]
	v_cvt_f32_f64_e32 v3, v[8:9]
	global_store_dwordx2 v[6:7], v[2:3], off
	global_load_dwordx2 v[2:3], v[106:107], off offset:1280
	v_mad_u64_u32 v[8:9], s[6:7], s4, v11, 0
	v_mov_b32_e32 v10, v9
	v_mad_u64_u32 v[10:11], s[6:7], s5, v11, v[10:11]
	v_mov_b32_e32 v9, v10
	v_lshl_add_u64 v[0:1], v[8:9], 3, v[0:1]
	s_mul_i32 s6, s5, 0x150
	s_waitcnt vmcnt(0)
	v_mul_f32_e32 v8, v5, v3
	v_mul_f32_e32 v3, v4, v3
	v_fmac_f32_e32 v8, v4, v2
	v_fma_f32 v4, v2, v5, -v3
	v_cvt_f64_f32_e32 v[2:3], v8
	v_cvt_f64_f32_e32 v[4:5], v4
	v_mul_f64 v[2:3], v[2:3], s[0:1]
	v_mul_f64 v[4:5], v[4:5], s[0:1]
	v_cvt_f32_f64_e32 v2, v[2:3]
	v_cvt_f32_f64_e32 v3, v[4:5]
	global_store_dwordx2 v[0:1], v[2:3], off
	global_load_dwordx2 v[4:5], v[106:107], off offset:1448
	ds_read2_b64 v[0:3], v127 offset0:181 offset1:202
	v_mov_b32_e32 v8, 0x150
	v_mad_u64_u32 v[6:7], s[4:5], s4, v8, v[6:7]
	v_add_u32_e32 v7, s6, v7
	s_waitcnt vmcnt(0) lgkmcnt(0)
	v_mul_f32_e32 v8, v1, v5
	v_mul_f32_e32 v5, v0, v5
	v_fmac_f32_e32 v8, v0, v4
	v_fma_f32 v4, v4, v1, -v5
	v_cvt_f64_f32_e32 v[0:1], v8
	v_cvt_f64_f32_e32 v[4:5], v4
	v_mul_f64 v[0:1], v[0:1], s[0:1]
	v_mul_f64 v[4:5], v[4:5], s[0:1]
	v_cvt_f32_f64_e32 v0, v[0:1]
	v_cvt_f32_f64_e32 v1, v[4:5]
	global_store_dwordx2 v[6:7], v[0:1], off
	global_load_dwordx2 v[0:1], v[106:107], off offset:1616
	v_lshl_add_u64 v[4:5], v[6:7], 0, s[2:3]
	s_waitcnt vmcnt(0)
	v_mul_f32_e32 v6, v3, v1
	v_mul_f32_e32 v1, v2, v1
	v_fmac_f32_e32 v6, v2, v0
	v_fma_f32 v2, v0, v3, -v1
	v_cvt_f64_f32_e32 v[0:1], v6
	v_cvt_f64_f32_e32 v[2:3], v2
	v_mul_f64 v[0:1], v[0:1], s[0:1]
	v_mul_f64 v[2:3], v[2:3], s[0:1]
	v_cvt_f32_f64_e32 v0, v[0:1]
	v_cvt_f32_f64_e32 v1, v[2:3]
	global_store_dwordx2 v[4:5], v[0:1], off
	global_load_dwordx2 v[6:7], v[106:107], off offset:1784
	ds_read2_b64 v[0:3], v127 offset0:223 offset1:244
	v_lshl_add_u64 v[4:5], v[4:5], 0, s[2:3]
	s_waitcnt vmcnt(0) lgkmcnt(0)
	v_mul_f32_e32 v8, v1, v7
	v_mul_f32_e32 v7, v0, v7
	v_fmac_f32_e32 v8, v0, v6
	v_fma_f32 v6, v6, v1, -v7
	v_cvt_f64_f32_e32 v[0:1], v8
	v_cvt_f64_f32_e32 v[6:7], v6
	v_mul_f64 v[0:1], v[0:1], s[0:1]
	v_mul_f64 v[6:7], v[6:7], s[0:1]
	v_cvt_f32_f64_e32 v0, v[0:1]
	v_cvt_f32_f64_e32 v1, v[6:7]
	global_store_dwordx2 v[4:5], v[0:1], off
	global_load_dwordx2 v[0:1], v[106:107], off offset:1952
	v_lshl_add_u64 v[4:5], v[4:5], 0, s[2:3]
	s_waitcnt vmcnt(0)
	v_mul_f32_e32 v6, v3, v1
	v_mul_f32_e32 v1, v2, v1
	v_fmac_f32_e32 v6, v2, v0
	v_fma_f32 v2, v0, v3, -v1
	v_cvt_f64_f32_e32 v[0:1], v6
	v_cvt_f64_f32_e32 v[2:3], v2
	v_mul_f64 v[0:1], v[0:1], s[0:1]
	v_mul_f64 v[2:3], v[2:3], s[0:1]
	v_cvt_f32_f64_e32 v0, v[0:1]
	v_cvt_f32_f64_e32 v1, v[2:3]
	global_store_dwordx2 v[4:5], v[0:1], off
	global_load_dwordx2 v[0:1], v[106:107], off offset:2120
	ds_read_b64 v[2:3], v127 offset:2120
	s_waitcnt vmcnt(0) lgkmcnt(0)
	v_mul_f32_e32 v6, v3, v1
	v_mul_f32_e32 v1, v2, v1
	v_fmac_f32_e32 v6, v2, v0
	v_fma_f32 v2, v0, v3, -v1
	v_cvt_f64_f32_e32 v[0:1], v6
	v_cvt_f64_f32_e32 v[2:3], v2
	v_mul_f64 v[0:1], v[0:1], s[0:1]
	v_mul_f64 v[2:3], v[2:3], s[0:1]
	v_cvt_f32_f64_e32 v0, v[0:1]
	v_cvt_f32_f64_e32 v1, v[2:3]
	v_lshl_add_u64 v[2:3], v[4:5], 0, s[2:3]
	global_store_dwordx2 v[2:3], v[0:1], off
.LBB0_15:
	s_endpgm
	.section	.rodata,"a",@progbits
	.p2align	6, 0x0
	.amdhsa_kernel bluestein_single_back_len273_dim1_sp_op_CI_CI
		.amdhsa_group_segment_fixed_size 8736
		.amdhsa_private_segment_fixed_size 0
		.amdhsa_kernarg_size 104
		.amdhsa_user_sgpr_count 2
		.amdhsa_user_sgpr_dispatch_ptr 0
		.amdhsa_user_sgpr_queue_ptr 0
		.amdhsa_user_sgpr_kernarg_segment_ptr 1
		.amdhsa_user_sgpr_dispatch_id 0
		.amdhsa_user_sgpr_kernarg_preload_length 0
		.amdhsa_user_sgpr_kernarg_preload_offset 0
		.amdhsa_user_sgpr_private_segment_size 0
		.amdhsa_uses_dynamic_stack 0
		.amdhsa_enable_private_segment 0
		.amdhsa_system_sgpr_workgroup_id_x 1
		.amdhsa_system_sgpr_workgroup_id_y 0
		.amdhsa_system_sgpr_workgroup_id_z 0
		.amdhsa_system_sgpr_workgroup_info 0
		.amdhsa_system_vgpr_workitem_id 0
		.amdhsa_next_free_vgpr 336
		.amdhsa_next_free_sgpr 54
		.amdhsa_accum_offset 256
		.amdhsa_reserve_vcc 1
		.amdhsa_float_round_mode_32 0
		.amdhsa_float_round_mode_16_64 0
		.amdhsa_float_denorm_mode_32 3
		.amdhsa_float_denorm_mode_16_64 3
		.amdhsa_dx10_clamp 1
		.amdhsa_ieee_mode 1
		.amdhsa_fp16_overflow 0
		.amdhsa_tg_split 0
		.amdhsa_exception_fp_ieee_invalid_op 0
		.amdhsa_exception_fp_denorm_src 0
		.amdhsa_exception_fp_ieee_div_zero 0
		.amdhsa_exception_fp_ieee_overflow 0
		.amdhsa_exception_fp_ieee_underflow 0
		.amdhsa_exception_fp_ieee_inexact 0
		.amdhsa_exception_int_div_zero 0
	.end_amdhsa_kernel
	.text
.Lfunc_end0:
	.size	bluestein_single_back_len273_dim1_sp_op_CI_CI, .Lfunc_end0-bluestein_single_back_len273_dim1_sp_op_CI_CI
                                        ; -- End function
	.section	.AMDGPU.csdata,"",@progbits
; Kernel info:
; codeLenInByte = 23824
; NumSgprs: 60
; NumVgprs: 256
; NumAgprs: 80
; TotalNumVgprs: 336
; ScratchSize: 0
; MemoryBound: 0
; FloatMode: 240
; IeeeMode: 1
; LDSByteSize: 8736 bytes/workgroup (compile time only)
; SGPRBlocks: 7
; VGPRBlocks: 41
; NumSGPRsForWavesPerEU: 60
; NumVGPRsForWavesPerEU: 336
; AccumOffset: 256
; Occupancy: 1
; WaveLimiterHint : 1
; COMPUTE_PGM_RSRC2:SCRATCH_EN: 0
; COMPUTE_PGM_RSRC2:USER_SGPR: 2
; COMPUTE_PGM_RSRC2:TRAP_HANDLER: 0
; COMPUTE_PGM_RSRC2:TGID_X_EN: 1
; COMPUTE_PGM_RSRC2:TGID_Y_EN: 0
; COMPUTE_PGM_RSRC2:TGID_Z_EN: 0
; COMPUTE_PGM_RSRC2:TIDIG_COMP_CNT: 0
; COMPUTE_PGM_RSRC3_GFX90A:ACCUM_OFFSET: 63
; COMPUTE_PGM_RSRC3_GFX90A:TG_SPLIT: 0
	.text
	.p2alignl 6, 3212836864
	.fill 256, 4, 3212836864
	.type	__hip_cuid_5026761fb5b298dc,@object ; @__hip_cuid_5026761fb5b298dc
	.section	.bss,"aw",@nobits
	.globl	__hip_cuid_5026761fb5b298dc
__hip_cuid_5026761fb5b298dc:
	.byte	0                               ; 0x0
	.size	__hip_cuid_5026761fb5b298dc, 1

	.ident	"AMD clang version 19.0.0git (https://github.com/RadeonOpenCompute/llvm-project roc-6.4.0 25133 c7fe45cf4b819c5991fe208aaa96edf142730f1d)"
	.section	".note.GNU-stack","",@progbits
	.addrsig
	.addrsig_sym __hip_cuid_5026761fb5b298dc
	.amdgpu_metadata
---
amdhsa.kernels:
  - .agpr_count:     80
    .args:
      - .actual_access:  read_only
        .address_space:  global
        .offset:         0
        .size:           8
        .value_kind:     global_buffer
      - .actual_access:  read_only
        .address_space:  global
        .offset:         8
        .size:           8
        .value_kind:     global_buffer
      - .actual_access:  read_only
        .address_space:  global
        .offset:         16
        .size:           8
        .value_kind:     global_buffer
      - .actual_access:  read_only
        .address_space:  global
        .offset:         24
        .size:           8
        .value_kind:     global_buffer
      - .actual_access:  read_only
        .address_space:  global
        .offset:         32
        .size:           8
        .value_kind:     global_buffer
      - .offset:         40
        .size:           8
        .value_kind:     by_value
      - .address_space:  global
        .offset:         48
        .size:           8
        .value_kind:     global_buffer
      - .address_space:  global
        .offset:         56
        .size:           8
        .value_kind:     global_buffer
      - .address_space:  global
        .offset:         64
        .size:           8
        .value_kind:     global_buffer
      - .address_space:  global
        .offset:         72
        .size:           8
        .value_kind:     global_buffer
      - .offset:         80
        .size:           4
        .value_kind:     by_value
      - .address_space:  global
        .offset:         88
        .size:           8
        .value_kind:     global_buffer
      - .address_space:  global
        .offset:         96
        .size:           8
        .value_kind:     global_buffer
    .group_segment_fixed_size: 8736
    .kernarg_segment_align: 8
    .kernarg_segment_size: 104
    .language:       OpenCL C
    .language_version:
      - 2
      - 0
    .max_flat_workgroup_size: 52
    .name:           bluestein_single_back_len273_dim1_sp_op_CI_CI
    .private_segment_fixed_size: 0
    .sgpr_count:     60
    .sgpr_spill_count: 0
    .symbol:         bluestein_single_back_len273_dim1_sp_op_CI_CI.kd
    .uniform_work_group_size: 1
    .uses_dynamic_stack: false
    .vgpr_count:     336
    .vgpr_spill_count: 0
    .wavefront_size: 64
amdhsa.target:   amdgcn-amd-amdhsa--gfx950
amdhsa.version:
  - 1
  - 2
...

	.end_amdgpu_metadata
